;; amdgpu-corpus repo=ROCm/aiter kind=harvested arch=n/a opt=n/a

/root/src/amdgpu-assembly/repos/ROCm__aiter/hsa/gfx942/fmoe/silu/fmoe_fp16_pertokenInt8_g1u0_vs_silu_1tg_ps_32x128.co:	file format elf64-amdgpu

Disassembly of section .text:

0000000000002e00 <_ZN5aiter49fmoe_fp16_pertokenInt8_g1u0_vs_silu_1tg_ps_32x128E>:
	v_lshrrev_b32_e32 v1, 10, v0                               // 000000002E00: 2002008A
	v_lshrrev_b32_e32 v2, 10, v1                               // 000000002E04: 2004028A
	v_and_b32_e32 v2, 0x3ff, v2                                // 000000002E08: 260404FF 000003FF
	v_and_b32_e32 v1, 0x3ff, v1                                // 000000002E10: 260202FF 000003FF
	v_and_b32_e32 v0, 0x3ff, v0                                // 000000002E18: 260000FF 000003FF
	v_lshrrev_b32_e32 v3, 6, v0                                // 000000002E20: 20060086
	v_and_b32_e32 v0, 63, v0                                   // 000000002E24: 260000BF
	s_mov_b32 s2, s2                                           // 000000002E28: BE820002
	s_mov_b32 s3, s3                                           // 000000002E2C: BE830003
	s_mov_b32 s4, s4                                           // 000000002E30: BE840004
	s_mov_b32 s99, s2                                          // 000000002E34: BEE30002
	v_readfirstlane_b32 s7, v3                                 // 000000002E38: 7E0E0503
	s_and_b32 s1, s1, 0xffff                                   // 000000002E3C: 8601FF01 0000FFFF
	s_mov_b32 s96, 0                                           // 000000002E44: BEE00080
	s_mov_b32 s97, 0                                           // 000000002E48: BEE10080
	s_mov_b32 s100, 0                                          // 000000002E4C: BEE40080
	s_load_dword s96, s[0:1], 0x1a0                            // 000000002E50: C0021800 000001A0
	s_load_dword s97, s[0:1], 0x1b0                            // 000000002E58: C0021840 000001B0
	s_waitcnt lgkmcnt(0)                                       // 000000002E60: BF8CC07F
	s_cmp_eq_u32 s96, 0                                        // 000000002E64: BF068060
	s_cbranch_scc1 label_005C                                  // 000000002E68: BF850041
	v_cvt_f32_u32_e32 v42, s97                                 // 000000002E6C: 7E540C61
	s_sub_i32 s60, 0, s97                                      // 000000002E70: 81BC6180
	v_rcp_iflag_f32_e32 v42, v42                               // 000000002E74: 7E54472A
	s_nop 0                                                    // 000000002E78: BF800000
	v_mul_f32_e32 v42, 0x4f7ffffe, v42                         // 000000002E7C: 0A5454FF 4F7FFFFE
	v_cvt_u32_f32_e32 v42, v42                                 // 000000002E84: 7E540F2A
	v_mul_lo_u32 v43, s60, v42                                 // 000000002E88: D285002B 0002543C
	v_mul_hi_u32 v43, v42, v43                                 // 000000002E90: D286002B 0002572A
	v_add_u32_e32 v42, v42, v43                                // 000000002E98: 6854572A
	v_mul_hi_u32 v42, s96, v42                                 // 000000002E9C: D286002A 00025460
	v_mul_lo_u32 v43, v42, s97                                 // 000000002EA4: D285002B 0000C32A
	v_sub_u32_e32 v45, s96, v43                                // 000000002EAC: 6A5A5660
	v_add_u32_e32 v44, 1, v42                                  // 000000002EB0: 68585481
	v_cmp_le_u32_e32 vcc, s97, v45                             // 000000002EB4: 7D965A61
	v_subrev_u32_e32 v43, s97, v45                             // 000000002EB8: 6C565A61
	s_nop 0                                                    // 000000002EBC: BF800000
	v_cndmask_b32_e32 v42, v42, v44, vcc                       // 000000002EC0: 0054592A
	v_cndmask_b32_e32 v45, v45, v43, vcc                       // 000000002EC4: 005A572D
	v_add_u32_e32 v43, 1, v42                                  // 000000002EC8: 68565481
	v_cmp_le_u32_e32 vcc, s97, v45                             // 000000002ECC: 7D965A61
	s_nop 1                                                    // 000000002ED0: BF800001
	v_cndmask_b32_e32 v45, v42, v43, vcc                       // 000000002ED4: 005A572A
	s_nop 3                                                    // 000000002ED8: BF800003
	v_readfirstlane_b32 s98, v45                               // 000000002EDC: 7EC4052D
	s_nop 3                                                    // 000000002EE0: BF800003

0000000000002ee4 <label_0039>:
	s_mov_b32 s4, 0                                            // 000000002EE4: BE840080
	v_cvt_f32_u32_e32 v42, s97                                 // 000000002EE8: 7E540C61
	s_sub_i32 s60, 0, s97                                      // 000000002EEC: 81BC6180
	v_rcp_iflag_f32_e32 v42, v42                               // 000000002EF0: 7E54472A
	s_nop 0                                                    // 000000002EF4: BF800000
	v_mul_f32_e32 v42, 0x4f7ffffe, v42                         // 000000002EF8: 0A5454FF 4F7FFFFE
	v_cvt_u32_f32_e32 v42, v42                                 // 000000002F00: 7E540F2A
	v_mul_lo_u32 v43, s60, v42                                 // 000000002F04: D285002B 0002543C
	v_mul_hi_u32 v43, v42, v43                                 // 000000002F0C: D286002B 0002572A
	v_add_u32_e32 v42, v42, v43                                // 000000002F14: 6854572A
	v_mul_hi_u32 v42, s99, v42                                 // 000000002F18: D286002A 00025463
	v_mul_lo_u32 v43, v42, s97                                 // 000000002F20: D285002B 0000C32A
	v_sub_u32_e32 v45, s99, v43                                // 000000002F28: 6A5A5663
	v_add_u32_e32 v44, 1, v42                                  // 000000002F2C: 68585481
	v_cmp_le_u32_e32 vcc, s97, v45                             // 000000002F30: 7D965A61
	v_subrev_u32_e32 v43, s97, v45                             // 000000002F34: 6C565A61
	s_nop 0                                                    // 000000002F38: BF800000
	v_cndmask_b32_e32 v42, v42, v44, vcc                       // 000000002F3C: 0054592A
	v_cndmask_b32_e32 v45, v45, v43, vcc                       // 000000002F40: 005A572D
	v_add_u32_e32 v43, 1, v42                                  // 000000002F44: 68565481
	v_cmp_le_u32_e32 vcc, s97, v45                             // 000000002F48: 7D965A61
	s_nop 1                                                    // 000000002F4C: BF800001
	v_cndmask_b32_e32 v45, v42, v43, vcc                       // 000000002F50: 005A572A
	s_nop 3                                                    // 000000002F54: BF800003
	v_readfirstlane_b32 s3, v45                                // 000000002F58: 7E06052D
	s_nop 3                                                    // 000000002F5C: BF800003
	s_mul_i32 s60, s3, s97                                     // 000000002F60: 923C6103
	s_sub_u32 s2, s99, s60                                     // 000000002F64: 80823C63
	s_mul_i32 s60, s98, s100                                   // 000000002F68: 923C6462
	s_add_i32 s3, s3, s60                                      // 000000002F6C: 81033C03

0000000000002f70 <label_005C>:
	s_and_b32 s1, s1, 0xffff                                   // 000000002F70: 8601FF01 0000FFFF
	s_load_dwordx2 s[8:9], s[0:1], 0x0                         // 000000002F78: C0060200 00000000
	s_load_dwordx2 s[20:21], s[0:1], 0x10                      // 000000002F80: C0060500 00000010
	s_load_dwordx2 s[24:25], s[0:1], 0x20                      // 000000002F88: C0060600 00000020
	s_load_dwordx2 s[50:51], s[0:1], 0x30                      // 000000002F90: C0060C80 00000030
	s_load_dwordx2 s[12:13], s[0:1], 0x40                      // 000000002F98: C0060300 00000040
	s_load_dwordx2 s[28:29], s[0:1], 0x50                      // 000000002FA0: C0060700 00000050
	s_load_dwordx2 s[32:33], s[0:1], 0x60                      // 000000002FA8: C0060800 00000060
	s_load_dwordx2 s[16:17], s[0:1], 0x70                      // 000000002FB0: C0060400 00000070
	s_load_dwordx2 s[36:37], s[0:1], 0x80                      // 000000002FB8: C0060900 00000080
	s_load_dwordx2 s[44:45], s[0:1], 0x90                      // 000000002FC0: C0060B00 00000090
	s_load_dwordx2 s[40:41], s[0:1], 0xa0                      // 000000002FC8: C0060A00 000000A0
	s_load_dwordx2 s[46:47], s[0:1], 0xb0                      // 000000002FD0: C0060B80 000000B0
	s_load_dword s64, s[0:1], 0xc0                             // 000000002FD8: C0021000 000000C0
	s_load_dword s65, s[0:1], 0xd0                             // 000000002FE0: C0021040 000000D0
	s_load_dword s67, s[0:1], 0xf0                             // 000000002FE8: C00210C0 000000F0
	s_load_dword s68, s[0:1], 0x100                            // 000000002FF0: C0021100 00000100
	s_load_dword s69, s[0:1], 0x110                            // 000000002FF8: C0021140 00000110
	s_load_dword s70, s[0:1], 0x120                            // 000000003000: C0021180 00000120
	s_load_dword s71, s[0:1], 0x130                            // 000000003008: C00211C0 00000130
	s_load_dword s72, s[0:1], 0x140                            // 000000003010: C0021200 00000140
	s_load_dword s73, s[0:1], 0x150                            // 000000003018: C0021240 00000150
	s_load_dword s74, s[0:1], 0x160                            // 000000003020: C0021280 00000160
	s_load_dword s75, s[0:1], 0x170                            // 000000003028: C00212C0 00000170
	s_load_dword s76, s[0:1], 0x180                            // 000000003030: C0021300 00000180
	s_load_dword s63, s[0:1], 0x190                            // 000000003038: C0020FC0 00000190
	s_mov_b32 s2, s2                                           // 000000003040: BE820002
	s_mov_b32 s3, s3                                           // 000000003044: BE830003
	s_mov_b32 s4, s4                                           // 000000003048: BE840004
	s_waitcnt lgkmcnt(0)                                       // 00000000304C: BF8CC07F
	s_and_b32 s51, s51, 0xffff                                 // 000000003050: 8633FF33 0000FFFF
	s_load_dword s66, s[50:51], 0x4                            // 000000003058: C0021099 00000004
	s_load_dword s50, s[50:51], 0x0                            // 000000003060: C0020C99 00000000
	s_waitcnt lgkmcnt(0)                                       // 000000003068: BF8CC07F
	s_and_b32 s45, s45, 0xffff                                 // 00000000306C: 862DFF2D 0000FFFF
	s_and_b32 s47, s47, 0xffff                                 // 000000003074: 862FFF2F 0000FFFF
	s_and_b32 s9, s9, 0xffff                                   // 00000000307C: 8609FF09 0000FFFF
	s_mul_i32 s60, s66, s68                                    // 000000003084: 923C4442
	s_mul_i32 s60, s63, s60                                    // 000000003088: 923C3C3F
	s_mul_i32 s61, s66, 4                                      // 00000000308C: 923D8442
	s_mul_i32 s61, s63, s61                                    // 000000003090: 923D3D3F
	s_mov_b32 s22, s60                                         // 000000003094: BE96003C
	s_mov_b32 s26, -16                                         // 000000003098: BE9A00D0
	s_mov_b32 s14, -16                                         // 00000000309C: BE8E00D0
	s_mov_b32 s42, -16                                         // 0000000030A0: BEAA00D0
	s_mov_b32 s30, s61                                         // 0000000030A4: BE9E003D
	s_mov_b32 s34, 0x200                                       // 0000000030A8: BEA200FF 00000200
	s_mov_b32 s38, 0x200                                       // 0000000030B0: BEA600FF 00000200
	s_mov_b32 s18, -16                                         // 0000000030B8: BE9200D0
	s_mov_b32 s23, 0x20000                                     // 0000000030BC: BE9700FF 00020000
	s_mov_b32 s27, 0x20000                                     // 0000000030C4: BE9B00FF 00020000
	s_mov_b32 s15, 0x20000                                     // 0000000030CC: BE8F00FF 00020000
	s_mov_b32 s43, 0x20000                                     // 0000000030D4: BEAB00FF 00020000
	s_mov_b32 s31, 0x20000                                     // 0000000030DC: BE9F00FF 00020000
	s_mov_b32 s35, 0x20000                                     // 0000000030E4: BEA300FF 00020000
	s_mov_b32 s39, 0x20000                                     // 0000000030EC: BEA700FF 00020000
	s_mov_b32 s19, 0x20000                                     // 0000000030F4: BE9300FF 00020000
	s_and_b32 s21, s21, 0xffff                                 // 0000000030FC: 8615FF15 0000FFFF
	s_and_b32 s25, s25, 0xffff                                 // 000000003104: 8619FF19 0000FFFF
	s_and_b32 s13, s13, 0xffff                                 // 00000000310C: 860DFF0D 0000FFFF
	s_and_b32 s41, s41, 0xffff                                 // 000000003114: 8629FF29 0000FFFF
	s_and_b32 s29, s29, 0xffff                                 // 00000000311C: 861DFF1D 0000FFFF
	s_and_b32 s33, s33, 0xffff                                 // 000000003124: 8621FF21 0000FFFF
	s_and_b32 s37, s37, 0xffff                                 // 00000000312C: 8625FF25 0000FFFF
	s_and_b32 s17, s17, 0xffff                                 // 000000003134: 8611FF11 0000FFFF
	s_or_b32 s21, s21, 0x40000                                 // 00000000313C: 8715FF15 00040000
	s_or_b32 s25, s25, 0x40000                                 // 000000003144: 8719FF19 00040000
	s_or_b32 s13, s13, 0x40000                                 // 00000000314C: 870DFF0D 00040000
	s_or_b32 s41, s41, 0x40000                                 // 000000003154: 8729FF29 00040000
	s_or_b32 s29, s29, 0x40000                                 // 00000000315C: 871DFF1D 00040000
	s_or_b32 s33, s33, 0x40000                                 // 000000003164: 8721FF21 00040000
	s_or_b32 s37, s37, 0x40000                                 // 00000000316C: 8725FF25 00040000
	s_or_b32 s17, s17, 0x40000                                 // 000000003174: 8711FF11 00040000
	v_accvgpr_write_b32 a63, 0                                 // 00000000317C: D3D9403F 18000080
	v_mov_b32_e32 v207, 0                                      // 000000003184: 7F9E0280
	s_waitcnt lgkmcnt(0)                                       // 000000003188: BF8CC07F
	s_mul_i32 s60, s3, 32                                      // 00000000318C: 923CA003
	s_cmp_lt_i32 s60, s50                                      // 000000003190: BF04323C
	s_cbranch_scc0 label_0ED5                                  // 000000003194: BF840DEF
	s_mov_b32 s80, 0                                           // 000000003198: BED00080
	s_mov_b32 s81, s64                                         // 00000000319C: BED10040
	s_mul_i32 s60, s3, 4                                       // 0000000031A0: 923C8403
	s_add_u32 s46, s60, s46                                    // 0000000031A4: 802E2E3C
	s_addc_u32 s47, 0, s47                                     // 0000000031A8: 822F2F80
	s_load_dword s5, s[46:47], 0x0                             // 0000000031AC: C0020157 00000000
	s_mul_i32 s60, s3, 32                                      // 0000000031B4: 923CA003
	s_mul_i32 s60, 4, s60                                      // 0000000031B8: 923C3C84
	v_and_b32_e32 v42, 15, v0                                  // 0000000031BC: 2654008F
	v_lshlrev_b32_e32 v42, 2, v42                              // 0000000031C0: 24545482
	v_add_u32_e32 v42, s60, v42                                // 0000000031C4: 6854543C
	v_mov_b32_e32 v43, 0                                       // 0000000031C8: 7E560280
	global_load_dword v6, v42, s[44:45]                        // 0000000031CC: DC508000 062C002A
	v_add_u32_e32 v42, 64, v42                                 // 0000000031D4: 685454C0
	global_load_dword v7, v42, s[44:45]                        // 0000000031D8: DC508000 072C002A
	s_mul_i32 s60, s3, 32                                      // 0000000031E0: 923CA003
	s_add_u32 s60, s7, s60                                     // 0000000031E4: 803C3C07
	s_mul_i32 s60, 4, s60                                      // 0000000031E8: 923C3C84
	s_add_u32 s44, s60, s44                                    // 0000000031EC: 802C2C3C
	s_addc_u32 s45, 0, s45                                     // 0000000031F0: 822D2D80
	s_load_dword s82, s[44:45], 0x0                            // 0000000031F4: C0021496 00000000
	s_load_dword s83, s[44:45], 0x10                           // 0000000031FC: C00214D6 00000010
	s_load_dword s84, s[44:45], 0x20                           // 000000003204: C0021516 00000020
	s_load_dword s85, s[44:45], 0x30                           // 00000000320C: C0021556 00000030
	s_load_dword s86, s[44:45], 0x40                           // 000000003214: C0021596 00000040
	s_load_dword s87, s[44:45], 0x50                           // 00000000321C: C00215D6 00000050
	s_load_dword s88, s[44:45], 0x60                           // 000000003224: C0021616 00000060
	s_load_dword s89, s[44:45], 0x70                           // 00000000322C: C0021656 00000070
	s_waitcnt lgkmcnt(0)                                       // 000000003234: BF8CC07F
	v_lshlrev_b32_e32 v42, 2, v0                               // 000000003238: 24540082
	s_lshr_b32 s61, s82, 24                                    // 00000000323C: 8F3D9852
	s_mul_i32 s61, s61, s68                                    // 000000003240: 923D443D
	s_mul_i32 s61, s61, s66                                    // 000000003244: 923D423D
	s_and_b32 s82, s82, 0xffffff                               // 000000003248: 8652FF52 00FFFFFF
	s_mul_i32 s60, s82, s68                                    // 000000003250: 923C4452
	s_add_u32 s60, s61, s60                                    // 000000003254: 803C3C3D
	v_add_u32_e64 v24, v42, s60                                // 000000003258: D1340018 0000792A
	s_lshr_b32 s61, s83, 24                                    // 000000003260: 8F3D9853
	s_mul_i32 s61, s61, s68                                    // 000000003264: 923D443D
	s_mul_i32 s61, s61, s66                                    // 000000003268: 923D423D
	s_and_b32 s83, s83, 0xffffff                               // 00000000326C: 8653FF53 00FFFFFF
	s_mul_i32 s60, s83, s68                                    // 000000003274: 923C4453
	s_add_u32 s60, s61, s60                                    // 000000003278: 803C3C3D
	v_add_u32_e64 v25, v42, s60                                // 00000000327C: D1340019 0000792A
	s_lshr_b32 s61, s84, 24                                    // 000000003284: 8F3D9854
	s_mul_i32 s61, s61, s68                                    // 000000003288: 923D443D
	s_mul_i32 s61, s61, s66                                    // 00000000328C: 923D423D
	s_and_b32 s84, s84, 0xffffff                               // 000000003290: 8654FF54 00FFFFFF
	s_mul_i32 s60, s84, s68                                    // 000000003298: 923C4454
	s_add_u32 s60, s61, s60                                    // 00000000329C: 803C3C3D
	v_add_u32_e64 v26, v42, s60                                // 0000000032A0: D134001A 0000792A
	s_lshr_b32 s61, s85, 24                                    // 0000000032A8: 8F3D9855
	s_mul_i32 s61, s61, s68                                    // 0000000032AC: 923D443D
	s_mul_i32 s61, s61, s66                                    // 0000000032B0: 923D423D
	s_and_b32 s85, s85, 0xffffff                               // 0000000032B4: 8655FF55 00FFFFFF
	s_mul_i32 s60, s85, s68                                    // 0000000032BC: 923C4455
	s_add_u32 s60, s61, s60                                    // 0000000032C0: 803C3C3D
	v_add_u32_e64 v27, v42, s60                                // 0000000032C4: D134001B 0000792A
	s_lshr_b32 s61, s86, 24                                    // 0000000032CC: 8F3D9856
	s_mul_i32 s61, s61, s68                                    // 0000000032D0: 923D443D
	s_mul_i32 s61, s61, s66                                    // 0000000032D4: 923D423D
	s_and_b32 s86, s86, 0xffffff                               // 0000000032D8: 8656FF56 00FFFFFF
	s_mul_i32 s60, s86, s68                                    // 0000000032E0: 923C4456
	s_add_u32 s60, s61, s60                                    // 0000000032E4: 803C3C3D
	v_add_u32_e64 v28, v42, s60                                // 0000000032E8: D134001C 0000792A
	s_lshr_b32 s61, s87, 24                                    // 0000000032F0: 8F3D9857
	s_mul_i32 s61, s61, s68                                    // 0000000032F4: 923D443D
	s_mul_i32 s61, s61, s66                                    // 0000000032F8: 923D423D
	s_and_b32 s87, s87, 0xffffff                               // 0000000032FC: 8657FF57 00FFFFFF
	s_mul_i32 s60, s87, s68                                    // 000000003304: 923C4457
	s_add_u32 s60, s61, s60                                    // 000000003308: 803C3C3D
	v_add_u32_e64 v29, v42, s60                                // 00000000330C: D134001D 0000792A
	s_lshr_b32 s61, s88, 24                                    // 000000003314: 8F3D9858
	s_mul_i32 s61, s61, s68                                    // 000000003318: 923D443D
	s_mul_i32 s61, s61, s66                                    // 00000000331C: 923D423D
	s_and_b32 s88, s88, 0xffffff                               // 000000003320: 8658FF58 00FFFFFF
	s_mul_i32 s60, s88, s68                                    // 000000003328: 923C4458
	s_add_u32 s60, s61, s60                                    // 00000000332C: 803C3C3D
	v_add_u32_e64 v30, v42, s60                                // 000000003330: D134001E 0000792A
	s_lshr_b32 s61, s89, 24                                    // 000000003338: 8F3D9859
	s_mul_i32 s61, s61, s68                                    // 00000000333C: 923D443D
	s_mul_i32 s61, s61, s66                                    // 000000003340: 923D423D
	s_and_b32 s89, s89, 0xffffff                               // 000000003344: 8659FF59 00FFFFFF
	s_mul_i32 s60, s89, s68                                    // 00000000334C: 923C4459
	s_add_u32 s60, s61, s60                                    // 000000003350: 803C3C3D
	v_add_u32_e64 v31, v42, s60                                // 000000003354: D134001F 0000792A
	v_lshlrev_b32_e32 v42, 2, v0                               // 00000000335C: 24540082
	s_mul_i32 s60, s82, s71                                    // 000000003360: 923C4752
	v_add_u32_e64 v80, v42, s60                                // 000000003364: D1340050 0000792A
	v_mov_b32_e32 v81, 0                                       // 00000000336C: 7EA20280
	s_mul_i32 s60, s83, s71                                    // 000000003370: 923C4753
	v_add_u32_e64 v82, v42, s60                                // 000000003374: D1340052 0000792A
	v_mov_b32_e32 v83, 0                                       // 00000000337C: 7EA60280
	s_mul_i32 s60, s84, s71                                    // 000000003380: 923C4754
	v_add_u32_e64 v84, v42, s60                                // 000000003384: D1340054 0000792A
	v_mov_b32_e32 v85, 0                                       // 00000000338C: 7EAA0280
	s_mul_i32 s60, s85, s71                                    // 000000003390: 923C4755
	v_add_u32_e64 v86, v42, s60                                // 000000003394: D1340056 0000792A
	v_mov_b32_e32 v87, 0                                       // 00000000339C: 7EAE0280
	s_mul_i32 s60, s86, s71                                    // 0000000033A0: 923C4756
	v_add_u32_e64 v88, v42, s60                                // 0000000033A4: D1340058 0000792A
	v_mov_b32_e32 v89, 0                                       // 0000000033AC: 7EB20280
	s_mul_i32 s60, s87, s71                                    // 0000000033B0: 923C4757
	v_add_u32_e64 v90, v42, s60                                // 0000000033B4: D134005A 0000792A
	v_mov_b32_e32 v91, 0                                       // 0000000033BC: 7EB60280
	s_mul_i32 s60, s88, s71                                    // 0000000033C0: 923C4758
	v_add_u32_e64 v92, v42, s60                                // 0000000033C4: D134005C 0000792A
	v_mov_b32_e32 v93, 0                                       // 0000000033CC: 7EBA0280
	s_mul_i32 s60, s89, s71                                    // 0000000033D0: 923C4759
	v_add_u32_e64 v94, v42, s60                                // 0000000033D4: D134005E 0000792A
	v_mov_b32_e32 v95, 0                                       // 0000000033DC: 7EBE0280
	s_mul_i32 s60, s7, 0x820                                   // 0000000033E0: 923CFF07 00000820
	s_add_u32 s50, 0, s60                                      // 0000000033E8: 80323C80
	s_add_u32 s51, 0x2080, s50                                 // 0000000033EC: 803332FF 00002080
	v_lshrrev_b32_e32 v42, 4, v0                               // 0000000033F4: 20540084
	v_lshlrev_b32_e32 v43, 2, v42                              // 0000000033F8: 24565482
	v_and_b32_e32 v42, 15, v0                                  // 0000000033FC: 2654008F
	v_lshrrev_b32_e32 v44, 2, v42                              // 000000003400: 20585482
	v_lshlrev_b32_e32 v44, 6, v44                              // 000000003404: 24585886
	v_add_u32_e32 v43, v44, v43                                // 000000003408: 6856572C
	v_and_b32_e32 v42, 3, v0                                   // 00000000340C: 26540083
	v_mul_i32_i24_e32 v44, 0x208, v42                          // 000000003410: 0C5854FF 00000208
	v_add_u32_e32 v43, v44, v43                                // 000000003418: 6856572C
	v_lshlrev_b32_e32 v2, 2, v43                               // 00000000341C: 24045682
	s_mul_i32 s60, s2, 0x80                                    // 000000003420: 923CFF02 00000080
	s_mul_i32 s60, s60, s69                                    // 000000003428: 923C453C
	s_mul_i32 s61, s5, s72                                     // 00000000342C: 923D4805
	s_add_u32 s60, s61, s60                                    // 000000003430: 803C3C3D
	s_add_u32 s24, s60, s24                                    // 000000003434: 8018183C
	s_addc_u32 s25, 0, s25                                     // 000000003438: 82191980
	s_mul_i32 s60, s7, 16                                      // 00000000343C: 923C9007
	s_mul_i32 s60, s60, s69                                    // 000000003440: 923C453C
	v_lshlrev_b32_e32 v32, 4, v0                               // 000000003444: 24400084
	v_add_u32_e32 v32, s60, v32                                // 000000003448: 6840403C
	s_mul_i32 s60, 64, s69                                     // 00000000344C: 923C45C0
	v_add_u32_e32 v33, s60, v32                                // 000000003450: 6842403C
	s_mul_i32 s60, s2, 0x800                                   // 000000003454: 923CFF02 00000800
	s_mul_i32 s61, s5, s73                                     // 00000000345C: 923D4905
	s_add_u32 s60, s61, s60                                    // 000000003460: 803C3C3D
	s_add_u32 s12, s60, s12                                    // 000000003464: 800C0C3C
	s_addc_u32 s13, 0, s13                                     // 000000003468: 820D0D80
	s_mul_i32 s60, s7, 16                                      // 00000000346C: 923C9007
	s_mul_i32 s60, s60, s70                                    // 000000003470: 923C463C
	v_lshlrev_b32_e32 v34, 4, v0                               // 000000003474: 24440084
	v_add_u32_e32 v34, s60, v34                                // 000000003478: 6844443C
	s_mul_i32 s60, 64, s70                                     // 00000000347C: 923C46C0
	v_add_u32_e32 v35, s60, v34                                // 000000003480: 6846443C
	v_add_u32_e32 v36, s60, v35                                // 000000003484: 6848463C
	v_add_u32_e32 v37, s60, v36                                // 000000003488: 684A483C
	s_mul_i32 s60, s3, 32                                      // 00000000348C: 923CA003
	s_mul_i32 s60, 4, s60                                      // 000000003490: 923C3C84
	s_add_u32 s40, s60, s40                                    // 000000003494: 8028283C
	s_addc_u32 s41, 0, s41                                     // 000000003498: 82292980
	v_and_b32_e32 v42, 15, v0                                  // 00000000349C: 2654008F
	v_lshlrev_b32_e32 v8, 2, v42                               // 0000000034A0: 24105482
	v_add_u32_e32 v9, 64, v8                                   // 0000000034A4: 681210C0
	v_lshrrev_b32_e32 v42, 4, v0                               // 0000000034A8: 20540084
	v_lshlrev_b32_e32 v43, 2, v42                              // 0000000034AC: 24565482
	v_and_b32_e32 v42, 15, v0                                  // 0000000034B0: 2654008F
	v_lshrrev_b32_e32 v44, 2, v42                              // 0000000034B4: 20585482
	v_lshlrev_b32_e32 v44, 6, v44                              // 0000000034B8: 24585886
	v_add_u32_e32 v43, v44, v43                                // 0000000034BC: 6856572C
	v_and_b32_e32 v42, 3, v0                                   // 0000000034C0: 26540083
	v_add_u32_e32 v43, v42, v43                                // 0000000034C4: 6856572A
	v_lshlrev_b32_e32 v10, 2, v43                              // 0000000034C8: 24145682
	v_add_u32_e32 v11, 0x400, v10                              // 0000000034CC: 681614FF 00000400
	s_mul_i32 s60, s7, 16                                      // 0000000034D4: 923C9007
	s_mul_i32 s60, s60, 4                                      // 0000000034D8: 923C843C
	v_add_u32_e32 v10, s60, v10                                // 0000000034DC: 6814143C
	v_add_u32_e32 v11, s60, v11                                // 0000000034E0: 6816163C
	v_mov_b32_e32 v5, v10                                      // 0000000034E4: 7E0A030A
	s_mul_i32 s60, s2, 0x80                                    // 0000000034E8: 923CFF02 00000080
	s_mul_i32 s60, s60, 4                                      // 0000000034F0: 923C843C
	s_mul_i32 s61, s5, s74                                     // 0000000034F4: 923D4A05
	s_add_u32 s61, s61, s60                                    // 0000000034F8: 803D3C3D
	s_mul_i32 s62, s5, s76                                     // 0000000034FC: 923E4C05
	s_add_u32 s62, s62, s60                                    // 000000003500: 803E3C3E
	s_add_u32 s32, s61, s32                                    // 000000003504: 8020203D
	s_addc_u32 s33, 0, s33                                     // 000000003508: 82212180
	s_add_u32 s36, s62, s36                                    // 00000000350C: 8024243E
	s_addc_u32 s37, 0, s37                                     // 000000003510: 82252580
	s_mul_i32 s60, s5, s75                                     // 000000003514: 923C4B05
	s_add_u32 s16, s60, s16                                    // 000000003518: 8010103C
	s_addc_u32 s17, 0, s17                                     // 00000000351C: 82111180
	s_mov_b32 s57, 0x100                                       // 000000003520: BEB900FF 00000100
	s_mov_b32 s58, 0x1000                                      // 000000003528: BEBA00FF 00001000
	s_mov_b32 s79, 0x400                                       // 000000003530: BECF00FF 00000400
	s_mov_b32 s59, 0x200                                       // 000000003538: BEBB00FF 00000200
	s_mul_i32 s60, s70, 0x100                                  // 000000003540: 923CFF46 00000100
	s_mov_b32 s78, 0x400                                       // 000000003548: BECE00FF 00000400
	s_mul_i32 s61, s78, 1                                      // 000000003550: 923D814E
	s_sub_u32 s56, s60, s61                                    // 000000003554: 80B83D3C
	s_mov_b32 s52, 0x7060302                                   // 000000003558: BEB400FF 07060302
	s_mov_b32 s53, 0x400                                       // 000000003560: BEB500FF 00000400
	s_mov_b32 s54, 0x40100                                     // 000000003568: BEB600FF 00040100
	s_mov_b32 s55, 0x4020100                                   // 000000003570: BEB700FF 04020100
	s_mov_b32 s6, 0x3fb8aa3b                                   // 000000003578: BE8600FF 3FB8AA3B
	s_mov_b32 s77, 0xbd92220c                                  // 000000003580: BECD00FF BD92220C
	s_mov_b32 m0, s50                                          // 000000003588: BEFC0032
	v_mov_b32_e32 v1, 0xbfcc4231                               // 00000000358C: 7E0202FF BFCC4231
	v_mov_b32_e32 v39, 0xffff0000                              // 000000003594: 7E4E02FF FFFF0000
	v_mov_b32_e32 v40, 0x7fff0000                              // 00000000359C: 7E5002FF 7FFF0000
	v_mov_b32_e32 v41, 0x7fff                                  // 0000000035A4: 7E5202FF 00007FFF
	s_waitcnt vmcnt(0) expcnt(0) lgkmcnt(0)                    // 0000000035AC: BF8C0000
	v_lshrrev_b32_e32 v42, 24, v6                              // 0000000035B0: 20540C98
	v_mul_i32_i24_e32 v42, s66, v42                            // 0000000035B4: 0C545442
	v_and_b32_e32 v43, 0xffffff, v6                            // 0000000035B8: 26560CFF 00FFFFFF
	v_add_u32_e32 v6, v42, v43                                 // 0000000035C0: 680C572A
	v_lshrrev_b32_e32 v42, 24, v7                              // 0000000035C4: 20540E98
	v_mul_i32_i24_e32 v42, s66, v42                            // 0000000035C8: 0C545442
	v_and_b32_e32 v43, 0xffffff, v7                            // 0000000035CC: 26560EFF 00FFFFFF
	v_add_u32_e32 v7, v42, v43                                 // 0000000035D4: 680E572A
	v_lshlrev_b32_e32 v6, 2, v6                                // 0000000035D8: 240C0C82
	v_lshlrev_b32_e32 v7, 2, v7                                // 0000000035DC: 240E0E82
	buffer_load_dword v13, v6, s[28:31], 0 offen               // 0000000035E0: E0501000 80070D06
	buffer_load_dword v14, v7, s[28:31], 0 offen               // 0000000035E8: E0501000 80070E07
	buffer_load_dword v15, v10, s[32:35], 0 offen              // 0000000035F0: E0501000 80080F0A
	buffer_load_dword v16, v11, s[32:35], 0 offen              // 0000000035F8: E0501000 8008100B
	buffer_load_dword v16, v10, s[36:39], 0 offen              // 000000003600: E0501000 8009100A
	buffer_load_dword v17, v11, s[36:39], 0 offen              // 000000003608: E0501000 8009110B
	buffer_load_dword v17, v8, s[40:43], 0 offen               // 000000003610: E0501000 800A1108
	buffer_load_dword v18, v9, s[40:43], 0 offen               // 000000003618: E0501000 800A1209
	buffer_load_dword v24, s[20:23], 0 offen lds               // 000000003620: E0511000 80050018
	s_add_u32 m0, 0x100, s50                                   // 000000003628: 807C32FF 00000100
	buffer_load_dword v25, s[20:23], 0 offen lds               // 000000003630: E0511000 80050019
	s_add_u32 m0, 0x200, s50                                   // 000000003638: 807C32FF 00000200
	buffer_load_dword v26, s[20:23], 0 offen lds               // 000000003640: E0511000 8005001A
	s_add_u32 m0, 0x300, s50                                   // 000000003648: 807C32FF 00000300
	buffer_load_dword v27, s[20:23], 0 offen lds               // 000000003650: E0511000 8005001B
	s_add_u32 m0, 0x400, s50                                   // 000000003658: 807C32FF 00000400
	buffer_load_dword v28, s[20:23], 0 offen lds               // 000000003660: E0511000 8005001C
	s_add_u32 m0, 0x500, s50                                   // 000000003668: 807C32FF 00000500
	buffer_load_dword v29, s[20:23], 0 offen lds               // 000000003670: E0511000 8005001D
	s_add_u32 m0, 0x600, s50                                   // 000000003678: 807C32FF 00000600
	buffer_load_dword v30, s[20:23], 0 offen lds               // 000000003680: E0511000 8005001E
	s_add_u32 m0, 0x700, s50                                   // 000000003688: 807C32FF 00000700
	buffer_load_dword v31, s[20:23], 0 offen lds               // 000000003690: E0511000 8005001F
	s_add_u32 m0, 0, s51                                       // 000000003698: 807C3380
	s_add_u32 s20, s57, s20                                    // 00000000369C: 80141439
	s_addc_u32 s21, 0, s21                                     // 0000000036A0: 82151580
	buffer_load_dword v24, s[20:23], 0 offen lds               // 0000000036A4: E0511000 80050018
	s_add_u32 m0, 0x100, s51                                   // 0000000036AC: 807C33FF 00000100
	buffer_load_dword v25, s[20:23], 0 offen lds               // 0000000036B4: E0511000 80050019
	s_add_u32 m0, 0x200, s51                                   // 0000000036BC: 807C33FF 00000200
	buffer_load_dword v26, s[20:23], 0 offen lds               // 0000000036C4: E0511000 8005001A
	s_add_u32 m0, 0x300, s51                                   // 0000000036CC: 807C33FF 00000300
	buffer_load_dword v27, s[20:23], 0 offen lds               // 0000000036D4: E0511000 8005001B
	s_add_u32 m0, 0x400, s51                                   // 0000000036DC: 807C33FF 00000400
	buffer_load_dword v28, s[20:23], 0 offen lds               // 0000000036E4: E0511000 8005001C
	s_add_u32 m0, 0x500, s51                                   // 0000000036EC: 807C33FF 00000500
	buffer_load_dword v29, s[20:23], 0 offen lds               // 0000000036F4: E0511000 8005001D
	s_add_u32 m0, 0x600, s51                                   // 0000000036FC: 807C33FF 00000600
	buffer_load_dword v30, s[20:23], 0 offen lds               // 000000003704: E0511000 8005001E
	s_add_u32 m0, 0x700, s51                                   // 00000000370C: 807C33FF 00000700
	buffer_load_dword v31, s[20:23], 0 offen lds               // 000000003714: E0511000 8005001F
	s_add_u32 m0, 0, s50                                       // 00000000371C: 807C3280
	s_add_u32 s20, s57, s20                                    // 000000003720: 80141439
	s_addc_u32 s21, 0, s21                                     // 000000003724: 82151580
	buffer_load_dwordx4 a[0:3], v32, s[24:27], 0 offen         // 000000003728: E05C1000 80860020
	buffer_load_dwordx4 a[4:7], v32, s[24:27], 0 offen offset:1024// 000000003730: E05C1400 80860420
	buffer_load_dwordx4 a[8:11], v32, s[24:27], 0 offen offset:2048// 000000003738: E05C1800 80860820
	buffer_load_dwordx4 a[12:15], v32, s[24:27], 0 offen offset:3072// 000000003740: E05C1C00 80860C20
	buffer_load_dwordx4 a[16:19], v33, s[24:27], 0 offen       // 000000003748: E05C1000 80861021
	buffer_load_dwordx4 a[20:23], v33, s[24:27], 0 offen offset:1024// 000000003750: E05C1400 80861421
	buffer_load_dwordx4 a[24:27], v33, s[24:27], 0 offen offset:2048// 000000003758: E05C1800 80861821
	buffer_load_dwordx4 a[28:31], v33, s[24:27], 0 offen offset:3072// 000000003760: E05C1C00 80861C21
	s_add_u32 s24, s58, s24                                    // 000000003768: 8018183A
	s_addc_u32 s25, 0, s25                                     // 00000000376C: 82191980
	v_mov_b32_e32 v128, 0                                      // 000000003770: 7F000280
	v_mov_b32_e32 v129, 0                                      // 000000003774: 7F020280
	v_mov_b32_e32 v130, 0                                      // 000000003778: 7F040280
	v_mov_b32_e32 v131, 0                                      // 00000000377C: 7F060280
	v_mov_b32_e32 v132, 0                                      // 000000003780: 7F080280
	v_mov_b32_e32 v133, 0                                      // 000000003784: 7F0A0280
	v_mov_b32_e32 v134, 0                                      // 000000003788: 7F0C0280
	v_mov_b32_e32 v135, 0                                      // 00000000378C: 7F0E0280
	v_mov_b32_e32 v136, 0                                      // 000000003790: 7F100280
	v_mov_b32_e32 v137, 0                                      // 000000003794: 7F120280
	v_mov_b32_e32 v138, 0                                      // 000000003798: 7F140280
	v_mov_b32_e32 v139, 0                                      // 00000000379C: 7F160280
	v_mov_b32_e32 v140, 0                                      // 0000000037A0: 7F180280
	v_mov_b32_e32 v141, 0                                      // 0000000037A4: 7F1A0280
	v_mov_b32_e32 v142, 0                                      // 0000000037A8: 7F1C0280
	v_mov_b32_e32 v143, 0                                      // 0000000037AC: 7F1E0280
	v_lshrrev_b32_e32 v42, 4, v0                               // 0000000037B0: 20540084
	v_mul_i32_i24_e32 v3, 34, v42                              // 0000000037B4: 0C0654A2
	v_and_b32_e32 v42, 15, v0                                  // 0000000037B8: 2654008F
	v_mul_i32_i24_e32 v43, 2, v42                              // 0000000037BC: 0C565482
	v_add_u32_e32 v3, v43, v3                                  // 0000000037C0: 6806072B
	s_mul_i32 s60, s7, 0x88                                    // 0000000037C4: 923CFF07 00000088
	v_add_u32_e32 v3, s60, v3                                  // 0000000037CC: 6806063C
	v_lshlrev_b32_e32 v3, 2, v3                                // 0000000037D0: 24060682
	v_lshrrev_b32_e32 v42, 1, v0                               // 0000000037D4: 20540081
	v_mul_i32_i24_e32 v4, 34, v42                              // 0000000037D8: 0C0854A2
	v_and_b32_e32 v43, 1, v0                                   // 0000000037DC: 26560081
	v_add_u32_e32 v4, v43, v4                                  // 0000000037E0: 6808092B
	s_mul_i32 s60, s7, 2                                       // 0000000037E4: 923C8207
	v_add_u32_e32 v4, s60, v4                                  // 0000000037E8: 6808083C
	v_lshlrev_b32_e32 v4, 2, v4                                // 0000000037EC: 24080882
	s_waitcnt vmcnt(16)                                        // 0000000037F0: BF8C4F70
	s_barrier                                                  // 0000000037F4: BF8A0000
	ds_read_b128 v[144:147], v2                                // 0000000037F8: D9FE0000 90000002
	ds_read_b128 v[148:151], v2 offset:64                      // 000000003800: D9FE0040 94000002
	ds_read_b128 v[152:155], v2 offset:128                     // 000000003808: D9FE0080 98000002
	ds_read_b128 v[156:159], v2 offset:192                     // 000000003810: D9FE00C0 9C000002
	ds_read_b128 v[160:163], v2 offset:1024                    // 000000003818: D9FE0400 A0000002
	ds_read_b128 v[164:167], v2 offset:1088                    // 000000003820: D9FE0440 A4000002
	ds_read_b128 v[168:171], v2 offset:1152                    // 000000003828: D9FE0480 A8000002
	ds_read_b128 v[172:175], v2 offset:1216                    // 000000003830: D9FE04C0 AC000002
	s_cmp_lt_i32 s7, 2                                         // 000000003838: BF048207
	s_cbranch_scc0 label_08B2                                  // 00000000383C: BF840622

0000000000003840 <label_0290>:
	s_waitcnt vmcnt(0) lgkmcnt(0)                              // 000000003840: BF8C0070
	s_barrier                                                  // 000000003844: BF8A0000
	v_mfma_i32_16x16x32_i8 v[128:131], a[0:1], v[144:145], v[128:131]// 000000003848: D3D70080 0E032100
	v_mfma_i32_16x16x32_i8 v[128:131], a[2:3], v[146:147], v[128:131]// 000000003850: D3D70080 0E032502
	buffer_load_dwordx4 a[32:35], v32, s[24:27], 0 offen       // 000000003858: E05C1000 80862020
	v_mfma_i32_16x16x32_i8 v[128:131], a[4:5], v[148:149], v[128:131]// 000000003860: D3D70080 0E032904
	v_mfma_i32_16x16x32_i8 v[128:131], a[6:7], v[150:151], v[128:131]// 000000003868: D3D70080 0E032D06
	buffer_load_dword v24, s[20:23], 0 offen lds               // 000000003870: E0511000 80050018
	s_add_u32 m0, 0x100, s50                                   // 000000003878: 807C32FF 00000100
	ds_read_b128 v[176:179], v2 offset:8320                    // 000000003880: D9FE2080 B0000002
	v_mfma_i32_16x16x32_i8 v[128:131], a[8:9], v[152:153], v[128:131]// 000000003888: D3D70080 0E033108
	v_mfma_i32_16x16x32_i8 v[128:131], a[10:11], v[154:155], v[128:131]// 000000003890: D3D70080 0E03350A
	buffer_load_dwordx4 a[36:39], v32, s[24:27], 0 offen offset:1024// 000000003898: E05C1400 80862420
	v_mfma_i32_16x16x32_i8 v[128:131], a[12:13], v[156:157], v[128:131]// 0000000038A0: D3D70080 0E03390C
	v_mfma_i32_16x16x32_i8 v[128:131], a[14:15], v[158:159], v[128:131]// 0000000038A8: D3D70080 0E033D0E
	buffer_load_dword v25, s[20:23], 0 offen lds               // 0000000038B0: E0511000 80050019
	s_add_u32 m0, 0x200, s50                                   // 0000000038B8: 807C32FF 00000200
	ds_read_b128 v[180:183], v2 offset:8384                    // 0000000038C0: D9FE20C0 B4000002
	v_mfma_i32_16x16x32_i8 v[132:135], a[0:1], v[160:161], v[132:135]// 0000000038C8: D3D70084 0E134100
	v_mfma_i32_16x16x32_i8 v[132:135], a[2:3], v[162:163], v[132:135]// 0000000038D0: D3D70084 0E134502
	buffer_load_dwordx4 a[40:43], v32, s[24:27], 0 offen offset:2048// 0000000038D8: E05C1800 80862820
	v_mfma_i32_16x16x32_i8 v[132:135], a[4:5], v[164:165], v[132:135]// 0000000038E0: D3D70084 0E134904
	v_mfma_i32_16x16x32_i8 v[132:135], a[6:7], v[166:167], v[132:135]// 0000000038E8: D3D70084 0E134D06
	buffer_load_dword v26, s[20:23], 0 offen lds               // 0000000038F0: E0511000 8005001A
	s_add_u32 m0, 0x300, s50                                   // 0000000038F8: 807C32FF 00000300
	ds_read_b128 v[184:187], v2 offset:8448                    // 000000003900: D9FE2100 B8000002
	v_mfma_i32_16x16x32_i8 v[132:135], a[8:9], v[168:169], v[132:135]// 000000003908: D3D70084 0E135108
	v_mfma_i32_16x16x32_i8 v[132:135], a[10:11], v[170:171], v[132:135]// 000000003910: D3D70084 0E13550A
	buffer_load_dwordx4 a[44:47], v32, s[24:27], 0 offen offset:3072// 000000003918: E05C1C00 80862C20
	v_mfma_i32_16x16x32_i8 v[132:135], a[12:13], v[172:173], v[132:135]// 000000003920: D3D70084 0E13590C
	v_mfma_i32_16x16x32_i8 v[132:135], a[14:15], v[174:175], v[132:135]// 000000003928: D3D70084 0E135D0E
	buffer_load_dword v27, s[20:23], 0 offen lds               // 000000003930: E0511000 8005001B
	s_add_u32 m0, 0x400, s50                                   // 000000003938: 807C32FF 00000400
	ds_read_b128 v[188:191], v2 offset:8512                    // 000000003940: D9FE2140 BC000002
	v_mfma_i32_16x16x32_i8 v[136:139], a[16:17], v[144:145], v[136:139]// 000000003948: D3D70088 0E232110
	v_mfma_i32_16x16x32_i8 v[136:139], a[18:19], v[146:147], v[136:139]// 000000003950: D3D70088 0E232512
	buffer_load_dwordx4 a[48:51], v33, s[24:27], 0 offen       // 000000003958: E05C1000 80863021
	v_mfma_i32_16x16x32_i8 v[136:139], a[20:21], v[148:149], v[136:139]// 000000003960: D3D70088 0E232914
	v_mfma_i32_16x16x32_i8 v[136:139], a[22:23], v[150:151], v[136:139]// 000000003968: D3D70088 0E232D16
	buffer_load_dword v28, s[20:23], 0 offen lds               // 000000003970: E0511000 8005001C
	s_add_u32 m0, 0x500, s50                                   // 000000003978: 807C32FF 00000500
	ds_read_b128 v[192:195], v2 offset:9344                    // 000000003980: D9FE2480 C0000002
	v_mfma_i32_16x16x32_i8 v[136:139], a[24:25], v[152:153], v[136:139]// 000000003988: D3D70088 0E233118
	v_mfma_i32_16x16x32_i8 v[136:139], a[26:27], v[154:155], v[136:139]// 000000003990: D3D70088 0E23351A
	buffer_load_dwordx4 a[52:55], v33, s[24:27], 0 offen offset:1024// 000000003998: E05C1400 80863421
	v_mfma_i32_16x16x32_i8 v[136:139], a[28:29], v[156:157], v[136:139]// 0000000039A0: D3D70088 0E23391C
	v_mfma_i32_16x16x32_i8 v[136:139], a[30:31], v[158:159], v[136:139]// 0000000039A8: D3D70088 0E233D1E
	buffer_load_dword v29, s[20:23], 0 offen lds               // 0000000039B0: E0511000 8005001D
	s_add_u32 m0, 0x600, s50                                   // 0000000039B8: 807C32FF 00000600
	ds_read_b128 v[196:199], v2 offset:9408                    // 0000000039C0: D9FE24C0 C4000002
	v_mfma_i32_16x16x32_i8 v[140:143], a[16:17], v[160:161], v[140:143]// 0000000039C8: D3D7008C 0E334110
	v_mfma_i32_16x16x32_i8 v[140:143], a[18:19], v[162:163], v[140:143]// 0000000039D0: D3D7008C 0E334512
	buffer_load_dwordx4 a[56:59], v33, s[24:27], 0 offen offset:2048// 0000000039D8: E05C1800 80863821
	v_mfma_i32_16x16x32_i8 v[140:143], a[20:21], v[164:165], v[140:143]// 0000000039E0: D3D7008C 0E334914
	v_mfma_i32_16x16x32_i8 v[140:143], a[22:23], v[166:167], v[140:143]// 0000000039E8: D3D7008C 0E334D16
	buffer_load_dword v30, s[20:23], 0 offen lds               // 0000000039F0: E0511000 8005001E
	s_add_u32 m0, 0x700, s50                                   // 0000000039F8: 807C32FF 00000700
	ds_read_b128 v[200:203], v2 offset:9472                    // 000000003A00: D9FE2500 C8000002
	v_mfma_i32_16x16x32_i8 v[140:143], a[24:25], v[168:169], v[140:143]// 000000003A08: D3D7008C 0E335118
	v_mfma_i32_16x16x32_i8 v[140:143], a[26:27], v[170:171], v[140:143]// 000000003A10: D3D7008C 0E33551A
	buffer_load_dwordx4 a[60:63], v33, s[24:27], 0 offen offset:3072// 000000003A18: E05C1C00 80863C21
	v_mfma_i32_16x16x32_i8 v[140:143], a[28:29], v[172:173], v[140:143]// 000000003A20: D3D7008C 0E33591C
	v_mfma_i32_16x16x32_i8 v[140:143], a[30:31], v[174:175], v[140:143]// 000000003A28: D3D7008C 0E335D1E
	buffer_load_dword v31, s[20:23], 0 offen lds               // 000000003A30: E0511000 8005001F
	s_add_u32 m0, 0, s51                                       // 000000003A38: 807C3380
	ds_read_b128 v[204:207], v2 offset:9536                    // 000000003A3C: D9FE2540 CC000002
	s_add_u32 s60, 0x300, s80                                  // 000000003A44: 803C50FF 00000300
	s_cmp_lt_u32 s60, s81                                      // 000000003A4C: BF0A513C
	s_cselect_b32 s57, s57, 0                                  // 000000003A50: 85398039
	s_add_u32 s60, 0x200, s80                                  // 000000003A54: 803C50FF 00000200
	s_cmp_lt_u32 s60, s81                                      // 000000003A5C: BF0A513C
	s_cselect_b32 s58, s58, 0                                  // 000000003A60: 853A803A
	s_add_u32 s20, s57, s20                                    // 000000003A64: 80141439
	s_addc_u32 s21, 0, s21                                     // 000000003A68: 82151580
	s_add_u32 s24, s58, s24                                    // 000000003A6C: 8018183A
	s_addc_u32 s25, 0, s25                                     // 000000003A70: 82191980
	s_addk_i32 s80, 0x100                                      // 000000003A74: B7500100
	s_cmp_lt_i32 s80, s81                                      // 000000003A78: BF045150
	s_cbranch_scc0 label_03B1                                  // 000000003A7C: BF840091
	s_waitcnt vmcnt(0) lgkmcnt(0)                              // 000000003A80: BF8C0070
	s_barrier                                                  // 000000003A84: BF8A0000
	v_mfma_i32_16x16x32_i8 v[128:131], a[32:33], v[176:177], v[128:131]// 000000003A88: D3D70080 0E036120
	v_mfma_i32_16x16x32_i8 v[128:131], a[34:35], v[178:179], v[128:131]// 000000003A90: D3D70080 0E036522
	buffer_load_dwordx4 a[0:3], v32, s[24:27], 0 offen         // 000000003A98: E05C1000 80860020
	v_mfma_i32_16x16x32_i8 v[128:131], a[36:37], v[180:181], v[128:131]// 000000003AA0: D3D70080 0E036924
	v_mfma_i32_16x16x32_i8 v[128:131], a[38:39], v[182:183], v[128:131]// 000000003AA8: D3D70080 0E036D26
	buffer_load_dword v24, s[20:23], 0 offen lds               // 000000003AB0: E0511000 80050018
	s_add_u32 m0, 0x100, s51                                   // 000000003AB8: 807C33FF 00000100
	ds_read_b128 v[144:147], v2                                // 000000003AC0: D9FE0000 90000002
	v_mfma_i32_16x16x32_i8 v[128:131], a[40:41], v[184:185], v[128:131]// 000000003AC8: D3D70080 0E037128
	v_mfma_i32_16x16x32_i8 v[128:131], a[42:43], v[186:187], v[128:131]// 000000003AD0: D3D70080 0E03752A
	buffer_load_dwordx4 a[4:7], v32, s[24:27], 0 offen offset:1024// 000000003AD8: E05C1400 80860420
	v_mfma_i32_16x16x32_i8 v[128:131], a[44:45], v[188:189], v[128:131]// 000000003AE0: D3D70080 0E03792C
	v_mfma_i32_16x16x32_i8 v[128:131], a[46:47], v[190:191], v[128:131]// 000000003AE8: D3D70080 0E037D2E
	buffer_load_dword v25, s[20:23], 0 offen lds               // 000000003AF0: E0511000 80050019
	s_add_u32 m0, 0x200, s51                                   // 000000003AF8: 807C33FF 00000200
	ds_read_b128 v[148:151], v2 offset:64                      // 000000003B00: D9FE0040 94000002
	v_mfma_i32_16x16x32_i8 v[132:135], a[32:33], v[192:193], v[132:135]// 000000003B08: D3D70084 0E138120
	v_mfma_i32_16x16x32_i8 v[132:135], a[34:35], v[194:195], v[132:135]// 000000003B10: D3D70084 0E138522
	buffer_load_dwordx4 a[8:11], v32, s[24:27], 0 offen offset:2048// 000000003B18: E05C1800 80860820
	v_mfma_i32_16x16x32_i8 v[132:135], a[36:37], v[196:197], v[132:135]// 000000003B20: D3D70084 0E138924
	v_mfma_i32_16x16x32_i8 v[132:135], a[38:39], v[198:199], v[132:135]// 000000003B28: D3D70084 0E138D26
	buffer_load_dword v26, s[20:23], 0 offen lds               // 000000003B30: E0511000 8005001A
	s_add_u32 m0, 0x300, s51                                   // 000000003B38: 807C33FF 00000300
	ds_read_b128 v[152:155], v2 offset:128                     // 000000003B40: D9FE0080 98000002
	v_mfma_i32_16x16x32_i8 v[132:135], a[40:41], v[200:201], v[132:135]// 000000003B48: D3D70084 0E139128
	v_mfma_i32_16x16x32_i8 v[132:135], a[42:43], v[202:203], v[132:135]// 000000003B50: D3D70084 0E13952A
	buffer_load_dwordx4 a[12:15], v32, s[24:27], 0 offen offset:3072// 000000003B58: E05C1C00 80860C20
	v_mfma_i32_16x16x32_i8 v[132:135], a[44:45], v[204:205], v[132:135]// 000000003B60: D3D70084 0E13992C
	v_mfma_i32_16x16x32_i8 v[132:135], a[46:47], v[206:207], v[132:135]// 000000003B68: D3D70084 0E139D2E
	buffer_load_dword v27, s[20:23], 0 offen lds               // 000000003B70: E0511000 8005001B
	s_add_u32 m0, 0x400, s51                                   // 000000003B78: 807C33FF 00000400
	ds_read_b128 v[156:159], v2 offset:192                     // 000000003B80: D9FE00C0 9C000002
	v_mfma_i32_16x16x32_i8 v[136:139], a[48:49], v[176:177], v[136:139]// 000000003B88: D3D70088 0E236130
	v_mfma_i32_16x16x32_i8 v[136:139], a[50:51], v[178:179], v[136:139]// 000000003B90: D3D70088 0E236532
	buffer_load_dwordx4 a[16:19], v33, s[24:27], 0 offen       // 000000003B98: E05C1000 80861021
	v_mfma_i32_16x16x32_i8 v[136:139], a[52:53], v[180:181], v[136:139]// 000000003BA0: D3D70088 0E236934
	v_mfma_i32_16x16x32_i8 v[136:139], a[54:55], v[182:183], v[136:139]// 000000003BA8: D3D70088 0E236D36
	buffer_load_dword v28, s[20:23], 0 offen lds               // 000000003BB0: E0511000 8005001C
	s_add_u32 m0, 0x500, s51                                   // 000000003BB8: 807C33FF 00000500
	ds_read_b128 v[160:163], v2 offset:1024                    // 000000003BC0: D9FE0400 A0000002
	v_mfma_i32_16x16x32_i8 v[136:139], a[56:57], v[184:185], v[136:139]// 000000003BC8: D3D70088 0E237138
	v_mfma_i32_16x16x32_i8 v[136:139], a[58:59], v[186:187], v[136:139]// 000000003BD0: D3D70088 0E23753A
	buffer_load_dwordx4 a[20:23], v33, s[24:27], 0 offen offset:1024// 000000003BD8: E05C1400 80861421
	v_mfma_i32_16x16x32_i8 v[136:139], a[60:61], v[188:189], v[136:139]// 000000003BE0: D3D70088 0E23793C
	v_mfma_i32_16x16x32_i8 v[136:139], a[62:63], v[190:191], v[136:139]// 000000003BE8: D3D70088 0E237D3E
	buffer_load_dword v29, s[20:23], 0 offen lds               // 000000003BF0: E0511000 8005001D
	s_add_u32 m0, 0x600, s51                                   // 000000003BF8: 807C33FF 00000600
	ds_read_b128 v[164:167], v2 offset:1088                    // 000000003C00: D9FE0440 A4000002
	v_mfma_i32_16x16x32_i8 v[140:143], a[48:49], v[192:193], v[140:143]// 000000003C08: D3D7008C 0E338130
	v_mfma_i32_16x16x32_i8 v[140:143], a[50:51], v[194:195], v[140:143]// 000000003C10: D3D7008C 0E338532
	buffer_load_dwordx4 a[24:27], v33, s[24:27], 0 offen offset:2048// 000000003C18: E05C1800 80861821
	v_mfma_i32_16x16x32_i8 v[140:143], a[52:53], v[196:197], v[140:143]// 000000003C20: D3D7008C 0E338934
	v_mfma_i32_16x16x32_i8 v[140:143], a[54:55], v[198:199], v[140:143]// 000000003C28: D3D7008C 0E338D36
	buffer_load_dword v30, s[20:23], 0 offen lds               // 000000003C30: E0511000 8005001E
	s_add_u32 m0, 0x700, s51                                   // 000000003C38: 807C33FF 00000700
	ds_read_b128 v[168:171], v2 offset:1152                    // 000000003C40: D9FE0480 A8000002
	v_mfma_i32_16x16x32_i8 v[140:143], a[56:57], v[200:201], v[140:143]// 000000003C48: D3D7008C 0E339138
	v_mfma_i32_16x16x32_i8 v[140:143], a[58:59], v[202:203], v[140:143]// 000000003C50: D3D7008C 0E33953A
	buffer_load_dwordx4 a[28:31], v33, s[24:27], 0 offen offset:3072// 000000003C58: E05C1C00 80861C21
	v_mfma_i32_16x16x32_i8 v[140:143], a[60:61], v[204:205], v[140:143]// 000000003C60: D3D7008C 0E33993C
	v_mfma_i32_16x16x32_i8 v[140:143], a[62:63], v[206:207], v[140:143]// 000000003C68: D3D7008C 0E339D3E
	buffer_load_dword v31, s[20:23], 0 offen lds               // 000000003C70: E0511000 8005001F
	s_add_u32 m0, 0, s50                                       // 000000003C78: 807C3280
	ds_read_b128 v[172:175], v2 offset:1216                    // 000000003C7C: D9FE04C0 AC000002
	s_add_u32 s60, 0x300, s80                                  // 000000003C84: 803C50FF 00000300
	s_cmp_lt_u32 s60, s81                                      // 000000003C8C: BF0A513C
	s_cselect_b32 s57, s57, 0                                  // 000000003C90: 85398039
	s_add_u32 s60, 0x200, s80                                  // 000000003C94: 803C50FF 00000200
	s_cmp_lt_u32 s60, s81                                      // 000000003C9C: BF0A513C
	s_cselect_b32 s58, s58, 0                                  // 000000003CA0: 853A803A
	s_add_u32 s20, s57, s20                                    // 000000003CA4: 80141439
	s_addc_u32 s21, 0, s21                                     // 000000003CA8: 82151580
	s_add_u32 s24, s58, s24                                    // 000000003CAC: 8018183A
	s_addc_u32 s25, 0, s25                                     // 000000003CB0: 82191980
	s_addk_i32 s80, 0x100                                      // 000000003CB4: B7500100
	s_cmp_lt_i32 s80, s81                                      // 000000003CB8: BF045150
	s_cbranch_scc0 label_03B1                                  // 000000003CBC: BF840001
	s_branch label_0290                                        // 000000003CC0: BF82FEDF

0000000000003cc4 <label_03B1>:
	s_mov_b32 s36, -1                                          // 000000003CC4: BEA400C1
	s_mov_b32 s37, -1                                          // 000000003CC8: BEA500C1
	s_mov_b64 s[60:61], 0                                      // 000000003CCC: BEBC0180
	s_cmp_lt_u32 s82, s66                                      // 000000003CD0: BF0A4252
	s_cselect_b64 s[20:21], s[36:37], s[60:61]                 // 000000003CD4: 85943C24
	s_cmp_lt_u32 s83, s66                                      // 000000003CD8: BF0A4253
	s_cselect_b64 s[22:23], s[36:37], s[60:61]                 // 000000003CDC: 85963C24
	s_cmp_lt_u32 s84, s66                                      // 000000003CE0: BF0A4254
	s_cselect_b64 s[24:25], s[36:37], s[60:61]                 // 000000003CE4: 85983C24
	s_cmp_lt_u32 s85, s66                                      // 000000003CE8: BF0A4255
	s_cselect_b64 s[26:27], s[36:37], s[60:61]                 // 000000003CEC: 859A3C24
	s_cmp_lt_u32 s86, s66                                      // 000000003CF0: BF0A4256
	s_cselect_b64 s[28:29], s[36:37], s[60:61]                 // 000000003CF4: 859C3C24
	s_cmp_lt_u32 s87, s66                                      // 000000003CF8: BF0A4257
	s_cselect_b64 s[30:31], s[36:37], s[60:61]                 // 000000003CFC: 859E3C24
	s_cmp_lt_u32 s88, s66                                      // 000000003D00: BF0A4258
	s_cselect_b64 s[32:33], s[36:37], s[60:61]                 // 000000003D04: 85A03C24
	s_cmp_lt_u32 s89, s66                                      // 000000003D08: BF0A4259
	s_cselect_b64 s[34:35], s[36:37], s[60:61]                 // 000000003D0C: 85A23C24
	v_cvt_f32_i32_e32 v128, v128                               // 000000003D10: 7F000B80
	v_cvt_f32_i32_e32 v129, v129                               // 000000003D14: 7F020B81
	v_cvt_f32_i32_e32 v130, v130                               // 000000003D18: 7F040B82
	v_cvt_f32_i32_e32 v131, v131                               // 000000003D1C: 7F060B83
	v_mul_f32_e32 v128, v13, v128                              // 000000003D20: 0B01010D
	v_mul_f32_e32 v129, v13, v129                              // 000000003D24: 0B03030D
	v_mul_f32_e32 v130, v13, v130                              // 000000003D28: 0B05050D
	v_mul_f32_e32 v131, v13, v131                              // 000000003D2C: 0B07070D
	v_mul_f32_dpp v128, v15, v128 row_newbcast:0 row_mask:0xf bank_mask:0xf// 000000003D30: 0B0100FA FF01500F
	v_mul_f32_dpp v129, v15, v129 row_newbcast:1 row_mask:0xf bank_mask:0xf// 000000003D38: 0B0302FA FF01510F
	v_mul_f32_dpp v130, v15, v130 row_newbcast:2 row_mask:0xf bank_mask:0xf// 000000003D40: 0B0504FA FF01520F
	v_mul_f32_dpp v131, v15, v131 row_newbcast:3 row_mask:0xf bank_mask:0xf// 000000003D48: 0B0706FA FF01530F
	v_cvt_f32_i32_e32 v132, v132                               // 000000003D50: 7F080B84
	v_cvt_f32_i32_e32 v133, v133                               // 000000003D54: 7F0A0B85
	v_cvt_f32_i32_e32 v134, v134                               // 000000003D58: 7F0C0B86
	v_cvt_f32_i32_e32 v135, v135                               // 000000003D5C: 7F0E0B87
	v_mul_f32_e32 v132, v14, v132                              // 000000003D60: 0B09090E
	v_mul_f32_e32 v133, v14, v133                              // 000000003D64: 0B0B0B0E
	v_mul_f32_e32 v134, v14, v134                              // 000000003D68: 0B0D0D0E
	v_mul_f32_e32 v135, v14, v135                              // 000000003D6C: 0B0F0F0E
	v_mul_f32_dpp v132, v15, v132 row_newbcast:0 row_mask:0xf bank_mask:0xf// 000000003D70: 0B0908FA FF01500F
	v_mul_f32_dpp v133, v15, v133 row_newbcast:1 row_mask:0xf bank_mask:0xf// 000000003D78: 0B0B0AFA FF01510F
	v_mul_f32_dpp v134, v15, v134 row_newbcast:2 row_mask:0xf bank_mask:0xf// 000000003D80: 0B0D0CFA FF01520F
	v_mul_f32_dpp v135, v15, v135 row_newbcast:3 row_mask:0xf bank_mask:0xf// 000000003D88: 0B0F0EFA FF01530F
	v_cvt_f32_i32_e32 v136, v136                               // 000000003D90: 7F100B88
	v_cvt_f32_i32_e32 v137, v137                               // 000000003D94: 7F120B89
	v_cvt_f32_i32_e32 v138, v138                               // 000000003D98: 7F140B8A
	v_cvt_f32_i32_e32 v139, v139                               // 000000003D9C: 7F160B8B
	v_mul_f32_e32 v136, v13, v136                              // 000000003DA0: 0B11110D
	v_mul_f32_e32 v137, v13, v137                              // 000000003DA4: 0B13130D
	v_mul_f32_e32 v138, v13, v138                              // 000000003DA8: 0B15150D
	v_mul_f32_e32 v139, v13, v139                              // 000000003DAC: 0B17170D
	v_mul_f32_dpp v136, v15, v136 row_newbcast:4 row_mask:0xf bank_mask:0xf// 000000003DB0: 0B1110FA FF01540F
	v_mul_f32_dpp v137, v15, v137 row_newbcast:5 row_mask:0xf bank_mask:0xf// 000000003DB8: 0B1312FA FF01550F
	v_mul_f32_dpp v138, v15, v138 row_newbcast:6 row_mask:0xf bank_mask:0xf// 000000003DC0: 0B1514FA FF01560F
	v_mul_f32_dpp v139, v15, v139 row_newbcast:7 row_mask:0xf bank_mask:0xf// 000000003DC8: 0B1716FA FF01570F
	v_cvt_f32_i32_e32 v140, v140                               // 000000003DD0: 7F180B8C
	v_cvt_f32_i32_e32 v141, v141                               // 000000003DD4: 7F1A0B8D
	v_cvt_f32_i32_e32 v142, v142                               // 000000003DD8: 7F1C0B8E
	v_cvt_f32_i32_e32 v143, v143                               // 000000003DDC: 7F1E0B8F
	v_mul_f32_e32 v140, v14, v140                              // 000000003DE0: 0B19190E
	v_mul_f32_e32 v141, v14, v141                              // 000000003DE4: 0B1B1B0E
	v_mul_f32_e32 v142, v14, v142                              // 000000003DE8: 0B1D1D0E
	v_mul_f32_e32 v143, v14, v143                              // 000000003DEC: 0B1F1F0E
	v_mul_f32_dpp v140, v15, v140 row_newbcast:4 row_mask:0xf bank_mask:0xf// 000000003DF0: 0B1918FA FF01540F
	v_mul_f32_dpp v141, v15, v141 row_newbcast:5 row_mask:0xf bank_mask:0xf// 000000003DF8: 0B1B1AFA FF01550F
	v_mul_f32_dpp v142, v15, v142 row_newbcast:6 row_mask:0xf bank_mask:0xf// 000000003E00: 0B1D1CFA FF01560F
	v_mul_f32_dpp v143, v15, v143 row_newbcast:7 row_mask:0xf bank_mask:0xf// 000000003E08: 0B1F1EFA FF01570F
	s_waitcnt vmcnt(4)                                         // 000000003E10: BF8C0F74
	buffer_load_dwordx4 a[0:3], v34, s[12:15], 0 offen         // 000000003E14: E05C1000 80830022
	v_mul_f32_e64 v42, -v128, s6                               // 000000003E1C: D105002A 20000D80
	v_mul_f32_e64 v43, -v129, s6                               // 000000003E24: D105002B 20000D81
	v_mul_f32_e64 v44, -v130, s6                               // 000000003E2C: D105002C 20000D82
	v_mul_f32_e64 v45, -v131, s6                               // 000000003E34: D105002D 20000D83
	v_exp_f32_e32 v42, v42                                     // 000000003E3C: 7E54412A
	v_exp_f32_e32 v43, v43                                     // 000000003E40: 7E56412B
	v_exp_f32_e32 v44, v44                                     // 000000003E44: 7E58412C
	v_exp_f32_e32 v45, v45                                     // 000000003E48: 7E5A412D
	buffer_load_dwordx4 a[4:7], v35, s[12:15], 0 offen         // 000000003E4C: E05C1000 80830423
	v_add_f32_e64 v42, v42, 1.0                                // 000000003E54: D101002A 0001E52A
	v_add_f32_e64 v43, v43, 1.0                                // 000000003E5C: D101002B 0001E52B
	v_add_f32_e64 v44, v44, 1.0                                // 000000003E64: D101002C 0001E52C
	v_add_f32_e64 v45, v45, 1.0                                // 000000003E6C: D101002D 0001E52D
	v_rcp_f32_e32 v42, v42                                     // 000000003E74: 7E54452A
	v_rcp_f32_e32 v43, v43                                     // 000000003E78: 7E56452B
	v_rcp_f32_e32 v44, v44                                     // 000000003E7C: 7E58452C
	v_rcp_f32_e32 v45, v45                                     // 000000003E80: 7E5A452D
	v_mul_f32_e32 v128, v128, v42                              // 000000003E84: 0B005580
	v_mul_f32_e32 v129, v129, v43                              // 000000003E88: 0B025781
	v_mul_f32_e32 v130, v130, v44                              // 000000003E8C: 0B045982
	v_mul_f32_e32 v131, v131, v45                              // 000000003E90: 0B065B83
	buffer_load_dwordx4 a[8:11], v36, s[12:15], 0 offen        // 000000003E94: E05C1000 80830824
	v_mul_f32_e64 v42, -v132, s6                               // 000000003E9C: D105002A 20000D84
	v_mul_f32_e64 v43, -v133, s6                               // 000000003EA4: D105002B 20000D85
	v_mul_f32_e64 v44, -v134, s6                               // 000000003EAC: D105002C 20000D86
	v_mul_f32_e64 v45, -v135, s6                               // 000000003EB4: D105002D 20000D87
	v_exp_f32_e32 v42, v42                                     // 000000003EBC: 7E54412A
	v_exp_f32_e32 v43, v43                                     // 000000003EC0: 7E56412B
	v_exp_f32_e32 v44, v44                                     // 000000003EC4: 7E58412C
	v_exp_f32_e32 v45, v45                                     // 000000003EC8: 7E5A412D
	buffer_load_dwordx4 a[12:15], v37, s[12:15], 0 offen       // 000000003ECC: E05C1000 80830C25
	s_add_u32 s12, s78, s12                                    // 000000003ED4: 800C0C4E
	s_addc_u32 s13, 0, s13                                     // 000000003ED8: 820D0D80
	v_add_f32_e64 v42, v42, 1.0                                // 000000003EDC: D101002A 0001E52A
	v_add_f32_e64 v43, v43, 1.0                                // 000000003EE4: D101002B 0001E52B
	v_add_f32_e64 v44, v44, 1.0                                // 000000003EEC: D101002C 0001E52C
	v_add_f32_e64 v45, v45, 1.0                                // 000000003EF4: D101002D 0001E52D
	v_rcp_f32_e32 v42, v42                                     // 000000003EFC: 7E54452A
	v_rcp_f32_e32 v43, v43                                     // 000000003F00: 7E56452B
	v_rcp_f32_e32 v44, v44                                     // 000000003F04: 7E58452C
	v_rcp_f32_e32 v45, v45                                     // 000000003F08: 7E5A452D
	v_mul_f32_e32 v132, v132, v42                              // 000000003F0C: 0B085584
	v_mul_f32_e32 v133, v133, v43                              // 000000003F10: 0B0A5785
	v_mul_f32_e32 v134, v134, v44                              // 000000003F14: 0B0C5986
	v_mul_f32_e32 v135, v135, v45                              // 000000003F18: 0B0E5B87
	s_waitcnt vmcnt(4)                                         // 000000003F1C: BF8C0F74
	buffer_load_dwordx4 a[16:19], v34, s[12:15], 0 offen       // 000000003F20: E05C1000 80831022
	v_mul_f32_e64 v42, -v136, s6                               // 000000003F28: D105002A 20000D88
	v_mul_f32_e64 v43, -v137, s6                               // 000000003F30: D105002B 20000D89
	v_mul_f32_e64 v44, -v138, s6                               // 000000003F38: D105002C 20000D8A
	v_mul_f32_e64 v45, -v139, s6                               // 000000003F40: D105002D 20000D8B
	v_exp_f32_e32 v42, v42                                     // 000000003F48: 7E54412A
	v_exp_f32_e32 v43, v43                                     // 000000003F4C: 7E56412B
	v_exp_f32_e32 v44, v44                                     // 000000003F50: 7E58412C
	v_exp_f32_e32 v45, v45                                     // 000000003F54: 7E5A412D
	buffer_load_dwordx4 a[20:23], v35, s[12:15], 0 offen       // 000000003F58: E05C1000 80831423
	v_add_f32_e64 v42, v42, 1.0                                // 000000003F60: D101002A 0001E52A
	v_add_f32_e64 v43, v43, 1.0                                // 000000003F68: D101002B 0001E52B
	v_add_f32_e64 v44, v44, 1.0                                // 000000003F70: D101002C 0001E52C
	v_add_f32_e64 v45, v45, 1.0                                // 000000003F78: D101002D 0001E52D
	v_rcp_f32_e32 v42, v42                                     // 000000003F80: 7E54452A
	v_rcp_f32_e32 v43, v43                                     // 000000003F84: 7E56452B
	v_rcp_f32_e32 v44, v44                                     // 000000003F88: 7E58452C
	v_rcp_f32_e32 v45, v45                                     // 000000003F8C: 7E5A452D
	v_mul_f32_e32 v136, v136, v42                              // 000000003F90: 0B105588
	v_mul_f32_e32 v137, v137, v43                              // 000000003F94: 0B125789
	v_mul_f32_e32 v138, v138, v44                              // 000000003F98: 0B14598A
	v_mul_f32_e32 v139, v139, v45                              // 000000003F9C: 0B165B8B
	buffer_load_dwordx4 a[24:27], v36, s[12:15], 0 offen       // 000000003FA0: E05C1000 80831824
	v_mul_f32_e64 v42, -v140, s6                               // 000000003FA8: D105002A 20000D8C
	v_mul_f32_e64 v43, -v141, s6                               // 000000003FB0: D105002B 20000D8D
	v_mul_f32_e64 v44, -v142, s6                               // 000000003FB8: D105002C 20000D8E
	v_mul_f32_e64 v45, -v143, s6                               // 000000003FC0: D105002D 20000D8F
	v_exp_f32_e32 v42, v42                                     // 000000003FC8: 7E54412A
	v_exp_f32_e32 v43, v43                                     // 000000003FCC: 7E56412B
	v_exp_f32_e32 v44, v44                                     // 000000003FD0: 7E58412C
	v_exp_f32_e32 v45, v45                                     // 000000003FD4: 7E5A412D
	buffer_load_dwordx4 a[28:31], v37, s[12:15], 0 offen       // 000000003FD8: E05C1000 80831C25
	v_add_f32_e64 v42, v42, 1.0                                // 000000003FE0: D101002A 0001E52A
	v_add_f32_e64 v43, v43, 1.0                                // 000000003FE8: D101002B 0001E52B
	v_add_f32_e64 v44, v44, 1.0                                // 000000003FF0: D101002C 0001E52C
	v_add_f32_e64 v45, v45, 1.0                                // 000000003FF8: D101002D 0001E52D
	v_rcp_f32_e32 v42, v42                                     // 000000004000: 7E54452A
	v_rcp_f32_e32 v43, v43                                     // 000000004004: 7E56452B
	v_rcp_f32_e32 v44, v44                                     // 000000004008: 7E58452C
	v_rcp_f32_e32 v45, v45                                     // 00000000400C: 7E5A452D
	v_mul_f32_e32 v140, v140, v42                              // 000000004010: 0B18558C
	v_mul_f32_e32 v141, v141, v43                              // 000000004014: 0B1A578D
	v_mul_f32_e32 v142, v142, v44                              // 000000004018: 0B1C598E
	v_mul_f32_e32 v143, v143, v45                              // 00000000401C: 0B1E5B8F
	v_mul_f32_dpp v128, v16, v128 row_newbcast:0 row_mask:0xf bank_mask:0xf// 000000004020: 0B0100FA FF015010
	v_mul_f32_dpp v129, v16, v129 row_newbcast:1 row_mask:0xf bank_mask:0xf// 000000004028: 0B0302FA FF015110
	v_mul_f32_dpp v130, v16, v130 row_newbcast:2 row_mask:0xf bank_mask:0xf// 000000004030: 0B0504FA FF015210
	v_mul_f32_dpp v131, v16, v131 row_newbcast:3 row_mask:0xf bank_mask:0xf// 000000004038: 0B0706FA FF015310
	v_mul_f32_dpp v132, v16, v132 row_newbcast:0 row_mask:0xf bank_mask:0xf// 000000004040: 0B0908FA FF015010
	v_mul_f32_dpp v133, v16, v133 row_newbcast:1 row_mask:0xf bank_mask:0xf// 000000004048: 0B0B0AFA FF015110
	v_mul_f32_dpp v134, v16, v134 row_newbcast:2 row_mask:0xf bank_mask:0xf// 000000004050: 0B0D0CFA FF015210
	v_mul_f32_dpp v135, v16, v135 row_newbcast:3 row_mask:0xf bank_mask:0xf// 000000004058: 0B0F0EFA FF015310
	v_mul_f32_dpp v136, v16, v136 row_newbcast:4 row_mask:0xf bank_mask:0xf// 000000004060: 0B1110FA FF015410
	v_mul_f32_dpp v137, v16, v137 row_newbcast:5 row_mask:0xf bank_mask:0xf// 000000004068: 0B1312FA FF015510
	v_mul_f32_dpp v138, v16, v138 row_newbcast:6 row_mask:0xf bank_mask:0xf// 000000004070: 0B1514FA FF015610
	v_mul_f32_dpp v139, v16, v139 row_newbcast:7 row_mask:0xf bank_mask:0xf// 000000004078: 0B1716FA FF015710
	v_mul_f32_dpp v140, v16, v140 row_newbcast:4 row_mask:0xf bank_mask:0xf// 000000004080: 0B1918FA FF015410
	v_mul_f32_dpp v141, v16, v141 row_newbcast:5 row_mask:0xf bank_mask:0xf// 000000004088: 0B1B1AFA FF015510
	v_mul_f32_dpp v142, v16, v142 row_newbcast:6 row_mask:0xf bank_mask:0xf// 000000004090: 0B1D1CFA FF015610
	v_mul_f32_dpp v143, v16, v143 row_newbcast:7 row_mask:0xf bank_mask:0xf// 000000004098: 0B1F1EFA FF015710
	buffer_load_dword v11, v5, s[16:19], 0 offen               // 0000000040A0: E0501000 80040B05
	v_mov_b32_e32 v20, 0x358637bd                              // 0000000040A8: 7E2802FF 358637BD
	v_mov_b32_e32 v21, 0x358637bd                              // 0000000040B0: 7E2A02FF 358637BD
	v_max3_f32 v20, |v128|, |v129|, v20                        // 0000000040B8: D1D30314 04530380
	v_max3_f32 v20, |v130|, |v131|, v20                        // 0000000040C0: D1D30314 04530782
	v_max3_f32 v21, |v132|, |v133|, v21                        // 0000000040C8: D1D30315 04570B84
	v_max3_f32 v21, |v134|, |v135|, v21                        // 0000000040D0: D1D30315 04570F86
	v_max3_f32 v20, |v136|, |v137|, v20                        // 0000000040D8: D1D30314 04531388
	v_max3_f32 v20, |v138|, |v139|, v20                        // 0000000040E0: D1D30314 0453178A
	v_max3_f32 v21, |v140|, |v141|, v21                        // 0000000040E8: D1D30315 04571B8C
	v_max3_f32 v21, |v142|, |v143|, v21                        // 0000000040F0: D1D30315 04571F8E
	v_lshlrev_b32_e32 v42, 3, v0                               // 0000000040F8: 24540083
	s_mul_i32 s60, 0x200, s7                                   // 0000000040FC: 923C07FF 00000200
	v_add_u32_e32 v42, s60, v42                                // 000000004104: 6854543C
	ds_write_b64 v42, v[20:21] offset:16640                    // 000000004108: D89A4100 0000142A
	s_waitcnt lgkmcnt(0)                                       // 000000004110: BF8CC07F
	s_barrier                                                  // 000000004114: BF8A0000
	v_and_b32_e32 v42, 15, v0                                  // 000000004118: 2654008F
	v_lshlrev_b32_e32 v42, 3, v42                              // 00000000411C: 24545483
	ds_read_b64 v[96:97], v42 offset:16640                     // 000000004120: D8EC4100 6000002A
	ds_read_b64 v[98:99], v42 offset:16768                     // 000000004128: D8EC4180 6200002A
	ds_read_b64 v[100:101], v42 offset:16896                   // 000000004130: D8EC4200 6400002A
	ds_read_b64 v[102:103], v42 offset:17024                   // 000000004138: D8EC4280 6600002A
	ds_read_b64 v[104:105], v42 offset:17152                   // 000000004140: D8EC4300 6800002A
	ds_read_b64 v[106:107], v42 offset:17280                   // 000000004148: D8EC4380 6A00002A
	ds_read_b64 v[108:109], v42 offset:17408                   // 000000004150: D8EC4400 6C00002A
	ds_read_b64 v[110:111], v42 offset:17536                   // 000000004158: D8EC4480 6E00002A
	ds_read_b64 v[112:113], v42 offset:17664                   // 000000004160: D8EC4500 7000002A
	ds_read_b64 v[114:115], v42 offset:17792                   // 000000004168: D8EC4580 7200002A
	ds_read_b64 v[116:117], v42 offset:17920                   // 000000004170: D8EC4600 7400002A
	ds_read_b64 v[118:119], v42 offset:18048                   // 000000004178: D8EC4680 7600002A
	ds_read_b64 v[120:121], v42 offset:18176                   // 000000004180: D8EC4700 7800002A
	ds_read_b64 v[122:123], v42 offset:18304                   // 000000004188: D8EC4780 7A00002A
	ds_read_b64 v[124:125], v42 offset:18432                   // 000000004190: D8EC4800 7C00002A
	ds_read_b64 v[126:127], v42 offset:18560                   // 000000004198: D8EC4880 7E00002A
	s_waitcnt lgkmcnt(0)                                       // 0000000041A0: BF8CC07F
	v_max3_f32 v20, |v96|, |v98|, v20                          // 0000000041A4: D1D30314 0452C560
	v_max3_f32 v21, |v97|, |v99|, v21                          // 0000000041AC: D1D30315 0456C761
	v_max3_f32 v20, |v100|, |v102|, v20                        // 0000000041B4: D1D30314 0452CD64
	v_max3_f32 v21, |v101|, |v103|, v21                        // 0000000041BC: D1D30315 0456CF65
	v_max3_f32 v20, |v104|, |v106|, v20                        // 0000000041C4: D1D30314 0452D568
	v_max3_f32 v21, |v105|, |v107|, v21                        // 0000000041CC: D1D30315 0456D769
	v_max3_f32 v20, |v108|, |v110|, v20                        // 0000000041D4: D1D30314 0452DD6C
	v_max3_f32 v21, |v109|, |v111|, v21                        // 0000000041DC: D1D30315 0456DF6D
	v_max3_f32 v20, |v112|, |v114|, v20                        // 0000000041E4: D1D30314 0452E570
	v_max3_f32 v21, |v113|, |v115|, v21                        // 0000000041EC: D1D30315 0456E771
	v_max3_f32 v20, |v116|, |v118|, v20                        // 0000000041F4: D1D30314 0452ED74
	v_max3_f32 v21, |v117|, |v119|, v21                        // 0000000041FC: D1D30315 0456EF75
	v_max3_f32 v20, |v120|, |v122|, v20                        // 000000004204: D1D30314 0452F578
	v_max3_f32 v21, |v121|, |v123|, v21                        // 00000000420C: D1D30315 0456F779
	v_max3_f32 v20, |v124|, |v126|, v20                        // 000000004214: D1D30314 0452FD7C
	v_max3_f32 v21, |v125|, |v127|, v21                        // 00000000421C: D1D30315 0456FF7D
	v_rcp_f32_e32 v20, v20                                     // 000000004224: 7E284514
	v_rcp_f32_e32 v21, v21                                     // 000000004228: 7E2A4515
	v_mul_f32_e32 v20, 0x42fe0000, v20                         // 00000000422C: 0A2828FF 42FE0000
	v_mul_f32_e32 v21, 0x42fe0000, v21                         // 000000004234: 0A2A2AFF 42FE0000
	v_mul_f32_e32 v128, v20, v128                              // 00000000423C: 0B010114
	v_mul_f32_e32 v129, v20, v129                              // 000000004240: 0B030314
	v_mul_f32_e32 v130, v20, v130                              // 000000004244: 0B050514
	v_mul_f32_e32 v131, v20, v131                              // 000000004248: 0B070714
	v_cvt_i32_f32_e32 v128, v128                               // 00000000424C: 7F001180
	v_cvt_i32_f32_e32 v129, v129                               // 000000004250: 7F021181
	v_cvt_i32_f32_e32 v130, v130                               // 000000004254: 7F041182
	v_cvt_i32_f32_e32 v131, v131                               // 000000004258: 7F061183
	v_perm_b32 v128, v129, v128, s53                           // 00000000425C: D1ED0080 00D70181
	v_perm_b32 v128, v130, v128, s54                           // 000000004264: D1ED0080 00DB0182
	v_perm_b32 v128, v131, v128, s55                           // 00000000426C: D1ED0080 00DF0183
	v_mul_f32_e32 v132, v21, v132                              // 000000004274: 0B090915
	v_mul_f32_e32 v133, v21, v133                              // 000000004278: 0B0B0B15
	v_mul_f32_e32 v134, v21, v134                              // 00000000427C: 0B0D0D15
	v_mul_f32_e32 v135, v21, v135                              // 000000004280: 0B0F0F15
	v_cvt_i32_f32_e32 v132, v132                               // 000000004284: 7F081184
	v_cvt_i32_f32_e32 v133, v133                               // 000000004288: 7F0A1185
	v_cvt_i32_f32_e32 v134, v134                               // 00000000428C: 7F0C1186
	v_cvt_i32_f32_e32 v135, v135                               // 000000004290: 7F0E1187
	v_perm_b32 v129, v133, v132, s53                           // 000000004294: D1ED0081 00D70985
	v_perm_b32 v129, v134, v129, s54                           // 00000000429C: D1ED0081 00DB0386
	v_perm_b32 v129, v135, v129, s55                           // 0000000042A4: D1ED0081 00DF0387
	v_mul_f32_e32 v136, v20, v136                              // 0000000042AC: 0B111114
	v_mul_f32_e32 v137, v20, v137                              // 0000000042B0: 0B131314
	v_mul_f32_e32 v138, v20, v138                              // 0000000042B4: 0B151514
	v_mul_f32_e32 v139, v20, v139                              // 0000000042B8: 0B171714
	v_cvt_i32_f32_e32 v136, v136                               // 0000000042BC: 7F101188
	v_cvt_i32_f32_e32 v137, v137                               // 0000000042C0: 7F121189
	v_cvt_i32_f32_e32 v138, v138                               // 0000000042C4: 7F14118A
	v_cvt_i32_f32_e32 v139, v139                               // 0000000042C8: 7F16118B
	v_perm_b32 v130, v137, v136, s53                           // 0000000042CC: D1ED0082 00D71189
	v_perm_b32 v130, v138, v130, s54                           // 0000000042D4: D1ED0082 00DB058A
	v_perm_b32 v130, v139, v130, s55                           // 0000000042DC: D1ED0082 00DF058B
	v_mul_f32_e32 v140, v21, v140                              // 0000000042E4: 0B191915
	v_mul_f32_e32 v141, v21, v141                              // 0000000042E8: 0B1B1B15
	v_mul_f32_e32 v142, v21, v142                              // 0000000042EC: 0B1D1D15
	v_mul_f32_e32 v143, v21, v143                              // 0000000042F0: 0B1F1F15
	v_cvt_i32_f32_e32 v140, v140                               // 0000000042F4: 7F18118C
	v_cvt_i32_f32_e32 v141, v141                               // 0000000042F8: 7F1A118D
	v_cvt_i32_f32_e32 v142, v142                               // 0000000042FC: 7F1C118E
	v_cvt_i32_f32_e32 v143, v143                               // 000000004300: 7F1E118F
	v_perm_b32 v131, v141, v140, s53                           // 000000004304: D1ED0083 00D7198D
	v_perm_b32 v131, v142, v131, s54                           // 00000000430C: D1ED0083 00DB078E
	v_perm_b32 v131, v143, v131, s55                           // 000000004314: D1ED0083 00DF078F
	v_rcp_f32_e32 v22, v20                                     // 00000000431C: 7E2C4514
	v_rcp_f32_e32 v23, v21                                     // 000000004320: 7E2E4515
	v_lshrrev_b32_e32 v42, 5, v0                               // 000000004324: 20540085
	v_lshlrev_b32_e32 v43, 5, v42                              // 000000004328: 24565485
	v_and_b32_e32 v42, 31, v0                                  // 00000000432C: 2654009F
	v_lshrrev_b32_e32 v44, 4, v42                              // 000000004330: 20585484
	v_add_u32_e32 v43, v44, v43                                // 000000004334: 6856572C
	v_and_b32_e32 v42, 15, v0                                  // 000000004338: 2654008F
	v_lshlrev_b32_e32 v42, 1, v42                              // 00000000433C: 24545481
	v_add_u32_e32 v43, v42, v43                                // 000000004340: 6856572A
	v_lshlrev_b32_e32 v42, 2, v43                              // 000000004344: 24545682
	s_mul_i32 s60, 0x100, s7                                   // 000000004348: 923C07FF 00000100
	v_add_u32_e64 v42, v42, s60                                // 000000004350: D134002A 0000792A
	ds_write_b32 v42, v128 offset:18688                        // 000000004358: D81A4900 0000802A
	ds_write_b32 v42, v129 offset:20736                        // 000000004360: D81A5100 0000812A
	ds_write_b32 v42, v130 offset:19712                        // 000000004368: D81A4D00 0000822A
	ds_write_b32 v42, v131 offset:21760                        // 000000004370: D81A5500 0000832A
	s_waitcnt lgkmcnt(0)                                       // 000000004378: BF8CC07F
	s_barrier                                                  // 00000000437C: BF8A0000
	v_lshrrev_b32_e32 v42, 4, v0                               // 000000004380: 20540084
	v_lshlrev_b32_e32 v43, 6, v42                              // 000000004384: 24565486
	v_and_b32_e32 v42, 15, v0                                  // 000000004388: 2654008F
	v_lshlrev_b32_e32 v42, 1, v42                              // 00000000438C: 24545481
	v_add_u32_e32 v43, v42, v43                                // 000000004390: 6856572A
	v_lshlrev_b32_e32 v42, 2, v43                              // 000000004394: 24545682
	ds_read_b64 v[128:129], v42 offset:18688                   // 000000004398: D8EC4900 8000002A
	ds_read_b64 v[130:131], v42 offset:18816                   // 0000000043A0: D8EC4980 8200002A
	ds_read_b64 v[132:133], v42 offset:19712                   // 0000000043A8: D8EC4D00 8400002A
	ds_read_b64 v[134:135], v42 offset:19840                   // 0000000043B0: D8EC4D80 8600002A
	ds_read_b64 v[136:137], v42 offset:20736                   // 0000000043B8: D8EC5100 8800002A
	ds_read_b64 v[138:139], v42 offset:20864                   // 0000000043C0: D8EC5180 8A00002A
	ds_read_b64 v[140:141], v42 offset:21760                   // 0000000043C8: D8EC5500 8C00002A
	ds_read_b64 v[142:143], v42 offset:21888                   // 0000000043D0: D8EC5580 8E00002A
	s_add_u32 s12, s56, s12                                    // 0000000043D8: 800C0C38
	s_addc_u32 s13, 0, s13                                     // 0000000043DC: 820D0D80
	s_add_u32 s16, s79, s16                                    // 0000000043E0: 8010104F
	s_addc_u32 s17, 0, s17                                     // 0000000043E4: 82111180
	s_mov_b32 s80, 0                                           // 0000000043E8: BED00080
	s_waitcnt vmcnt(0) expcnt(0) lgkmcnt(0)                    // 0000000043EC: BF8C0000

00000000000043f0 <label_057C>:
	s_waitcnt vmcnt(21)                                        // 0000000043F0: BF8C4F75
	s_barrier                                                  // 0000000043F4: BF8A0000
	v_mfma_i32_16x16x32_i8 v[144:147], a[0:1], v[128:129], 0   // 0000000043F8: D3D70090 0A030100
	v_mfma_i32_16x16x32_i8 v[144:147], a[2:3], v[130:131], v[144:147]// 000000004400: D3D70090 0E430502
	buffer_load_dwordx4 a[32:35], v34, s[12:15], 0 offen       // 000000004408: E05C1000 80832022
	v_mfma_i32_16x16x32_i8 v[148:151], a[0:1], v[136:137], 0   // 000000004410: D3D70094 0A031100
	v_mfma_i32_16x16x32_i8 v[148:151], a[2:3], v[138:139], v[148:151]// 000000004418: D3D70094 0E531502
	v_mfma_i32_16x16x32_i8 v[152:155], a[4:5], v[128:129], 0   // 000000004420: D3D70098 0A030104
	v_mfma_i32_16x16x32_i8 v[152:155], a[6:7], v[130:131], v[152:155]// 000000004428: D3D70098 0E630506
	buffer_load_dwordx4 a[36:39], v35, s[12:15], 0 offen       // 000000004430: E05C1000 80832423
	v_mfma_i32_16x16x32_i8 v[156:159], a[4:5], v[136:137], 0   // 000000004438: D3D7009C 0A031104
	v_mfma_i32_16x16x32_i8 v[156:159], a[6:7], v[138:139], v[156:159]// 000000004440: D3D7009C 0E731506
	v_mfma_i32_16x16x32_i8 v[160:163], a[8:9], v[128:129], 0   // 000000004448: D3D700A0 0A030108
	v_mfma_i32_16x16x32_i8 v[160:163], a[10:11], v[130:131], v[160:163]// 000000004450: D3D700A0 0E83050A
	buffer_load_dwordx4 a[40:43], v36, s[12:15], 0 offen       // 000000004458: E05C1000 80832824
	v_mfma_i32_16x16x32_i8 v[164:167], a[8:9], v[136:137], 0   // 000000004460: D3D700A4 0A031108
	v_mfma_i32_16x16x32_i8 v[164:167], a[10:11], v[138:139], v[164:167]// 000000004468: D3D700A4 0E93150A
	v_mfma_i32_16x16x32_i8 v[168:171], a[12:13], v[128:129], 0 // 000000004470: D3D700A8 0A03010C
	v_mfma_i32_16x16x32_i8 v[168:171], a[14:15], v[130:131], v[168:171]// 000000004478: D3D700A8 0EA3050E
	buffer_load_dwordx4 a[44:47], v37, s[12:15], 0 offen       // 000000004480: E05C1000 80832C25
	s_add_u32 s12, s78, s12                                    // 000000004488: 800C0C4E
	s_addc_u32 s13, 0, s13                                     // 00000000448C: 820D0D80
	v_mfma_i32_16x16x32_i8 v[172:175], a[12:13], v[136:137], 0 // 000000004490: D3D700AC 0A03110C
	v_mfma_i32_16x16x32_i8 v[172:175], a[14:15], v[138:139], v[172:175]// 000000004498: D3D700AC 0EB3150E
	s_waitcnt vmcnt(20)                                        // 0000000044A0: BF8C4F74
	v_mfma_i32_16x16x32_i8 v[144:147], a[16:17], v[132:133], v[144:147]// 0000000044A4: D3D70090 0E430910
	v_mfma_i32_16x16x32_i8 v[144:147], a[18:19], v[134:135], v[144:147]// 0000000044AC: D3D70090 0E430D12
	buffer_load_dwordx4 a[48:51], v34, s[12:15], 0 offen       // 0000000044B4: E05C1000 80833022
	v_mfma_i32_16x16x32_i8 v[148:151], a[16:17], v[140:141], v[148:151]// 0000000044BC: D3D70094 0E531910
	v_mfma_i32_16x16x32_i8 v[148:151], a[18:19], v[142:143], v[148:151]// 0000000044C4: D3D70094 0E531D12
	buffer_load_dword v12, v5, s[16:19], 0 offen               // 0000000044CC: E0501000 80040C05
	v_mfma_i32_16x16x32_i8 v[152:155], a[20:21], v[132:133], v[152:155]// 0000000044D4: D3D70098 0E630914
	v_mfma_i32_16x16x32_i8 v[152:155], a[22:23], v[134:135], v[152:155]// 0000000044DC: D3D70098 0E630D16
	buffer_load_dwordx4 a[52:55], v35, s[12:15], 0 offen       // 0000000044E4: E05C1000 80833423
	v_mfma_i32_16x16x32_i8 v[156:159], a[20:21], v[140:141], v[156:159]// 0000000044EC: D3D7009C 0E731914
	v_mfma_i32_16x16x32_i8 v[156:159], a[22:23], v[142:143], v[156:159]// 0000000044F4: D3D7009C 0E731D16
	v_mfma_i32_16x16x32_i8 v[160:163], a[24:25], v[132:133], v[160:163]// 0000000044FC: D3D700A0 0E830918
	v_mfma_i32_16x16x32_i8 v[160:163], a[26:27], v[134:135], v[160:163]// 000000004504: D3D700A0 0E830D1A
	buffer_load_dwordx4 a[56:59], v36, s[12:15], 0 offen       // 00000000450C: E05C1000 80833824
	v_mfma_i32_16x16x32_i8 v[164:167], a[24:25], v[140:141], v[164:167]// 000000004514: D3D700A4 0E931918
	v_mfma_i32_16x16x32_i8 v[164:167], a[26:27], v[142:143], v[164:167]// 00000000451C: D3D700A4 0E931D1A
	v_mfma_i32_16x16x32_i8 v[168:171], a[28:29], v[132:133], v[168:171]// 000000004524: D3D700A8 0EA3091C
	v_mfma_i32_16x16x32_i8 v[168:171], a[30:31], v[134:135], v[168:171]// 00000000452C: D3D700A8 0EA30D1E
	buffer_load_dwordx4 a[60:63], v37, s[12:15], 0 offen       // 000000004534: E05C1000 80833C25
	v_mfma_i32_16x16x32_i8 v[172:175], a[28:29], v[140:141], v[172:175]// 00000000453C: D3D700AC 0EB3191C
	v_mfma_i32_16x16x32_i8 v[172:175], a[30:31], v[142:143], v[172:175]// 000000004544: D3D700AC 0EB31D1E
	s_add_u32 s60, 0x200, s80                                  // 00000000454C: 803C50FF 00000200
	s_cmp_lt_u32 s60, s81                                      // 000000004554: BF0A513C
	s_cselect_b32 s56, s56, 0                                  // 000000004558: 85388038
	s_cselect_b32 s78, s78, 0                                  // 00000000455C: 854E804E
	s_cselect_b32 s79, s79, 0                                  // 000000004560: 854F804F
	s_add_u32 s12, s56, s12                                    // 000000004564: 800C0C38
	s_addc_u32 s13, 0, s13                                     // 000000004568: 820D0D80
	s_add_u32 s16, s79, s16                                    // 00000000456C: 8010104F
	s_addc_u32 s17, 0, s17                                     // 000000004570: 82111180
	v_cvt_f32_i32_e32 v144, v144                               // 000000004574: 7F200B90
	v_cvt_f32_i32_e32 v145, v145                               // 000000004578: 7F220B91
	v_cvt_f32_i32_e32 v146, v146                               // 00000000457C: 7F240B92
	v_cvt_f32_i32_e32 v147, v147                               // 000000004580: 7F260B93
	v_mul_f32_e32 v144, v22, v144                              // 000000004584: 0B212116
	v_mul_f32_e32 v145, v22, v145                              // 000000004588: 0B232316
	v_mul_f32_e32 v146, v22, v146                              // 00000000458C: 0B252516
	v_mul_f32_e32 v147, v22, v147                              // 000000004590: 0B272716
	v_mul_f32_dpp v144, v11, v144 row_newbcast:0 row_mask:0xf bank_mask:0xf// 000000004594: 0B2120FA FF01500B
	v_mul_f32_dpp v145, v11, v145 row_newbcast:1 row_mask:0xf bank_mask:0xf// 00000000459C: 0B2322FA FF01510B
	v_mul_f32_dpp v146, v11, v146 row_newbcast:2 row_mask:0xf bank_mask:0xf// 0000000045A4: 0B2524FA FF01520B
	v_mul_f32_dpp v147, v11, v147 row_newbcast:3 row_mask:0xf bank_mask:0xf// 0000000045AC: 0B2726FA FF01530B
	v_mul_f32_e32 v144, v17, v144                              // 0000000045B4: 0B212111
	v_mul_f32_e32 v145, v17, v145                              // 0000000045B8: 0B232311
	v_mul_f32_e32 v146, v17, v146                              // 0000000045BC: 0B252511
	v_mul_f32_e32 v147, v17, v147                              // 0000000045C0: 0B272711
	v_cvt_f32_i32_e32 v148, v148                               // 0000000045C4: 7F280B94
	v_cvt_f32_i32_e32 v149, v149                               // 0000000045C8: 7F2A0B95
	v_cvt_f32_i32_e32 v150, v150                               // 0000000045CC: 7F2C0B96
	v_cvt_f32_i32_e32 v151, v151                               // 0000000045D0: 7F2E0B97
	v_mul_f32_e32 v148, v23, v148                              // 0000000045D4: 0B292917
	v_mul_f32_e32 v149, v23, v149                              // 0000000045D8: 0B2B2B17
	v_mul_f32_e32 v150, v23, v150                              // 0000000045DC: 0B2D2D17
	v_mul_f32_e32 v151, v23, v151                              // 0000000045E0: 0B2F2F17
	v_mul_f32_dpp v148, v11, v148 row_newbcast:0 row_mask:0xf bank_mask:0xf// 0000000045E4: 0B2928FA FF01500B
	v_mul_f32_dpp v149, v11, v149 row_newbcast:1 row_mask:0xf bank_mask:0xf// 0000000045EC: 0B2B2AFA FF01510B
	v_mul_f32_dpp v150, v11, v150 row_newbcast:2 row_mask:0xf bank_mask:0xf// 0000000045F4: 0B2D2CFA FF01520B
	v_mul_f32_dpp v151, v11, v151 row_newbcast:3 row_mask:0xf bank_mask:0xf// 0000000045FC: 0B2F2EFA FF01530B
	v_mul_f32_e32 v148, v18, v148                              // 000000004604: 0B292912
	v_mul_f32_e32 v149, v18, v149                              // 000000004608: 0B2B2B12
	v_mul_f32_e32 v150, v18, v150                              // 00000000460C: 0B2D2D12
	v_mul_f32_e32 v151, v18, v151                              // 000000004610: 0B2F2F12
	v_cvt_f32_i32_e32 v152, v152                               // 000000004614: 7F300B98
	v_cvt_f32_i32_e32 v153, v153                               // 000000004618: 7F320B99
	v_cvt_f32_i32_e32 v154, v154                               // 00000000461C: 7F340B9A
	v_cvt_f32_i32_e32 v155, v155                               // 000000004620: 7F360B9B
	v_mul_f32_e32 v152, v22, v152                              // 000000004624: 0B313116
	v_mul_f32_e32 v153, v22, v153                              // 000000004628: 0B333316
	v_mul_f32_e32 v154, v22, v154                              // 00000000462C: 0B353516
	v_mul_f32_e32 v155, v22, v155                              // 000000004630: 0B373716
	v_mul_f32_dpp v152, v11, v152 row_newbcast:4 row_mask:0xf bank_mask:0xf// 000000004634: 0B3130FA FF01540B
	v_mul_f32_dpp v153, v11, v153 row_newbcast:5 row_mask:0xf bank_mask:0xf// 00000000463C: 0B3332FA FF01550B
	v_mul_f32_dpp v154, v11, v154 row_newbcast:6 row_mask:0xf bank_mask:0xf// 000000004644: 0B3534FA FF01560B
	v_mul_f32_dpp v155, v11, v155 row_newbcast:7 row_mask:0xf bank_mask:0xf// 00000000464C: 0B3736FA FF01570B
	v_mul_f32_e32 v152, v17, v152                              // 000000004654: 0B313111
	v_mul_f32_e32 v153, v17, v153                              // 000000004658: 0B333311
	v_mul_f32_e32 v154, v17, v154                              // 00000000465C: 0B353511
	v_mul_f32_e32 v155, v17, v155                              // 000000004660: 0B373711
	v_cvt_f32_i32_e32 v156, v156                               // 000000004664: 7F380B9C
	v_cvt_f32_i32_e32 v157, v157                               // 000000004668: 7F3A0B9D
	v_cvt_f32_i32_e32 v158, v158                               // 00000000466C: 7F3C0B9E
	v_cvt_f32_i32_e32 v159, v159                               // 000000004670: 7F3E0B9F
	v_mul_f32_e32 v156, v23, v156                              // 000000004674: 0B393917
	v_mul_f32_e32 v157, v23, v157                              // 000000004678: 0B3B3B17
	v_mul_f32_e32 v158, v23, v158                              // 00000000467C: 0B3D3D17
	v_mul_f32_e32 v159, v23, v159                              // 000000004680: 0B3F3F17
	v_mul_f32_dpp v156, v11, v156 row_newbcast:4 row_mask:0xf bank_mask:0xf// 000000004684: 0B3938FA FF01540B
	v_mul_f32_dpp v157, v11, v157 row_newbcast:5 row_mask:0xf bank_mask:0xf// 00000000468C: 0B3B3AFA FF01550B
	v_mul_f32_dpp v158, v11, v158 row_newbcast:6 row_mask:0xf bank_mask:0xf// 000000004694: 0B3D3CFA FF01560B
	v_mul_f32_dpp v159, v11, v159 row_newbcast:7 row_mask:0xf bank_mask:0xf// 00000000469C: 0B3F3EFA FF01570B
	v_mul_f32_e32 v156, v18, v156                              // 0000000046A4: 0B393912
	v_mul_f32_e32 v157, v18, v157                              // 0000000046A8: 0B3B3B12
	v_mul_f32_e32 v158, v18, v158                              // 0000000046AC: 0B3D3D12
	v_mul_f32_e32 v159, v18, v159                              // 0000000046B0: 0B3F3F12
	v_cvt_f32_i32_e32 v160, v160                               // 0000000046B4: 7F400BA0
	v_cvt_f32_i32_e32 v161, v161                               // 0000000046B8: 7F420BA1
	v_cvt_f32_i32_e32 v162, v162                               // 0000000046BC: 7F440BA2
	v_cvt_f32_i32_e32 v163, v163                               // 0000000046C0: 7F460BA3
	v_mul_f32_e32 v160, v22, v160                              // 0000000046C4: 0B414116
	v_mul_f32_e32 v161, v22, v161                              // 0000000046C8: 0B434316
	v_mul_f32_e32 v162, v22, v162                              // 0000000046CC: 0B454516
	v_mul_f32_e32 v163, v22, v163                              // 0000000046D0: 0B474716
	v_mul_f32_dpp v160, v11, v160 row_newbcast:8 row_mask:0xf bank_mask:0xf// 0000000046D4: 0B4140FA FF01580B
	v_mul_f32_dpp v161, v11, v161 row_newbcast:9 row_mask:0xf bank_mask:0xf// 0000000046DC: 0B4342FA FF01590B
	v_mul_f32_dpp v162, v11, v162 row_newbcast:10 row_mask:0xf bank_mask:0xf// 0000000046E4: 0B4544FA FF015A0B
	v_mul_f32_dpp v163, v11, v163 row_newbcast:11 row_mask:0xf bank_mask:0xf// 0000000046EC: 0B4746FA FF015B0B
	v_mul_f32_e32 v160, v17, v160                              // 0000000046F4: 0B414111
	v_mul_f32_e32 v161, v17, v161                              // 0000000046F8: 0B434311
	v_mul_f32_e32 v162, v17, v162                              // 0000000046FC: 0B454511
	v_mul_f32_e32 v163, v17, v163                              // 000000004700: 0B474711
	v_cvt_f32_i32_e32 v164, v164                               // 000000004704: 7F480BA4
	v_cvt_f32_i32_e32 v165, v165                               // 000000004708: 7F4A0BA5
	v_cvt_f32_i32_e32 v166, v166                               // 00000000470C: 7F4C0BA6
	v_cvt_f32_i32_e32 v167, v167                               // 000000004710: 7F4E0BA7
	v_mul_f32_e32 v164, v23, v164                              // 000000004714: 0B494917
	v_mul_f32_e32 v165, v23, v165                              // 000000004718: 0B4B4B17
	v_mul_f32_e32 v166, v23, v166                              // 00000000471C: 0B4D4D17
	v_mul_f32_e32 v167, v23, v167                              // 000000004720: 0B4F4F17
	v_mul_f32_dpp v164, v11, v164 row_newbcast:8 row_mask:0xf bank_mask:0xf// 000000004724: 0B4948FA FF01580B
	v_mul_f32_dpp v165, v11, v165 row_newbcast:9 row_mask:0xf bank_mask:0xf// 00000000472C: 0B4B4AFA FF01590B
	v_mul_f32_dpp v166, v11, v166 row_newbcast:10 row_mask:0xf bank_mask:0xf// 000000004734: 0B4D4CFA FF015A0B
	v_mul_f32_dpp v167, v11, v167 row_newbcast:11 row_mask:0xf bank_mask:0xf// 00000000473C: 0B4F4EFA FF015B0B
	v_mul_f32_e32 v164, v18, v164                              // 000000004744: 0B494912
	v_mul_f32_e32 v165, v18, v165                              // 000000004748: 0B4B4B12
	v_mul_f32_e32 v166, v18, v166                              // 00000000474C: 0B4D4D12
	v_mul_f32_e32 v167, v18, v167                              // 000000004750: 0B4F4F12
	v_cvt_f32_i32_e32 v168, v168                               // 000000004754: 7F500BA8
	v_cvt_f32_i32_e32 v169, v169                               // 000000004758: 7F520BA9
	v_cvt_f32_i32_e32 v170, v170                               // 00000000475C: 7F540BAA
	v_cvt_f32_i32_e32 v171, v171                               // 000000004760: 7F560BAB
	v_mul_f32_e32 v168, v22, v168                              // 000000004764: 0B515116
	v_mul_f32_e32 v169, v22, v169                              // 000000004768: 0B535316
	v_mul_f32_e32 v170, v22, v170                              // 00000000476C: 0B555516
	v_mul_f32_e32 v171, v22, v171                              // 000000004770: 0B575716
	v_mul_f32_dpp v168, v11, v168 row_newbcast:12 row_mask:0xf bank_mask:0xf// 000000004774: 0B5150FA FF015C0B
	v_mul_f32_dpp v169, v11, v169 row_newbcast:13 row_mask:0xf bank_mask:0xf// 00000000477C: 0B5352FA FF015D0B
	v_mul_f32_dpp v170, v11, v170 row_newbcast:14 row_mask:0xf bank_mask:0xf// 000000004784: 0B5554FA FF015E0B
	v_mul_f32_dpp v171, v11, v171 row_newbcast:15 row_mask:0xf bank_mask:0xf// 00000000478C: 0B5756FA FF015F0B
	v_mul_f32_e32 v168, v17, v168                              // 000000004794: 0B515111
	v_mul_f32_e32 v169, v17, v169                              // 000000004798: 0B535311
	v_mul_f32_e32 v170, v17, v170                              // 00000000479C: 0B555511
	v_mul_f32_e32 v171, v17, v171                              // 0000000047A0: 0B575711
	v_cvt_f32_i32_e32 v172, v172                               // 0000000047A4: 7F580BAC
	v_cvt_f32_i32_e32 v173, v173                               // 0000000047A8: 7F5A0BAD
	v_cvt_f32_i32_e32 v174, v174                               // 0000000047AC: 7F5C0BAE
	v_cvt_f32_i32_e32 v175, v175                               // 0000000047B0: 7F5E0BAF
	v_mul_f32_e32 v172, v23, v172                              // 0000000047B4: 0B595917
	v_mul_f32_e32 v173, v23, v173                              // 0000000047B8: 0B5B5B17
	v_mul_f32_e32 v174, v23, v174                              // 0000000047BC: 0B5D5D17
	v_mul_f32_e32 v175, v23, v175                              // 0000000047C0: 0B5F5F17
	v_mul_f32_dpp v172, v11, v172 row_newbcast:12 row_mask:0xf bank_mask:0xf// 0000000047C4: 0B5958FA FF015C0B
	v_mul_f32_dpp v173, v11, v173 row_newbcast:13 row_mask:0xf bank_mask:0xf// 0000000047CC: 0B5B5AFA FF015D0B
	v_mul_f32_dpp v174, v11, v174 row_newbcast:14 row_mask:0xf bank_mask:0xf// 0000000047D4: 0B5D5CFA FF015E0B
	v_mul_f32_dpp v175, v11, v175 row_newbcast:15 row_mask:0xf bank_mask:0xf// 0000000047DC: 0B5F5EFA FF015F0B
	v_mul_f32_e32 v172, v18, v172                              // 0000000047E4: 0B595912
	v_mul_f32_e32 v173, v18, v173                              // 0000000047E8: 0B5B5B12
	v_mul_f32_e32 v174, v18, v174                              // 0000000047EC: 0B5D5D12
	v_mul_f32_e32 v175, v18, v175                              // 0000000047F0: 0B5F5F12
	v_cvt_pkrtz_f16_f32 v144, v144, v145                       // 0000000047F4: D2960090 00032390
	v_cvt_pkrtz_f16_f32 v145, v146, v147                       // 0000000047FC: D2960091 00032792
	v_cvt_pkrtz_f16_f32 v146, v148, v149                       // 000000004804: D2960092 00032B94
	v_cvt_pkrtz_f16_f32 v147, v150, v151                       // 00000000480C: D2960093 00032F96
	v_cvt_pkrtz_f16_f32 v148, v152, v153                       // 000000004814: D2960094 00033398
	v_cvt_pkrtz_f16_f32 v149, v154, v155                       // 00000000481C: D2960095 0003379A
	v_cvt_pkrtz_f16_f32 v150, v156, v157                       // 000000004824: D2960096 00033B9C
	v_cvt_pkrtz_f16_f32 v151, v158, v159                       // 00000000482C: D2960097 00033F9E
	v_cvt_pkrtz_f16_f32 v152, v160, v161                       // 000000004834: D2960098 000343A0
	v_cvt_pkrtz_f16_f32 v153, v162, v163                       // 00000000483C: D2960099 000347A2
	v_cvt_pkrtz_f16_f32 v154, v164, v165                       // 000000004844: D296009A 00034BA4
	v_cvt_pkrtz_f16_f32 v155, v166, v167                       // 00000000484C: D296009B 00034FA6
	v_cvt_pkrtz_f16_f32 v156, v168, v169                       // 000000004854: D296009C 000353A8
	v_cvt_pkrtz_f16_f32 v157, v170, v171                       // 00000000485C: D296009D 000357AA
	v_cvt_pkrtz_f16_f32 v158, v172, v173                       // 000000004864: D296009E 00035BAC
	v_cvt_pkrtz_f16_f32 v159, v174, v175                       // 00000000486C: D296009F 00035FAE
	ds_write_b64 v3, v[144:145] offset:22784                   // 000000004874: D89A5900 00009003
	ds_write_b64 v3, v[146:147] offset:31488                   // 00000000487C: D89A7B00 00009203
	ds_write_b64 v3, v[148:149] offset:24960                   // 000000004884: D89A6180 00009403
	ds_write_b64 v3, v[150:151] offset:33664                   // 00000000488C: D89A8380 00009603
	ds_write_b64 v3, v[152:153] offset:27136                   // 000000004894: D89A6A00 00009803
	ds_write_b64 v3, v[154:155] offset:35840                   // 00000000489C: D89A8C00 00009A03
	ds_write_b64 v3, v[156:157] offset:29312                   // 0000000048A4: D89A7280 00009C03
	ds_write_b64 v3, v[158:159] offset:38016                   // 0000000048AC: D89A9480 00009E03
	s_waitcnt lgkmcnt(0)                                       // 0000000048B4: BF8CC07F
	s_barrier                                                  // 0000000048B8: BF8A0000
	ds_read_b32 v64, v4 offset:22784                           // 0000000048BC: D86C5900 40000004
	ds_read_b32 v65, v4 offset:27136                           // 0000000048C4: D86C6A00 41000004
	ds_read_b32 v66, v4 offset:22816                           // 0000000048CC: D86C5920 42000004
	ds_read_b32 v67, v4 offset:27168                           // 0000000048D4: D86C6A20 43000004
	ds_read_b32 v68, v4 offset:22848                           // 0000000048DC: D86C5940 44000004
	ds_read_b32 v69, v4 offset:27200                           // 0000000048E4: D86C6A40 45000004
	ds_read_b32 v70, v4 offset:22880                           // 0000000048EC: D86C5960 46000004
	ds_read_b32 v71, v4 offset:27232                           // 0000000048F4: D86C6A60 47000004
	ds_read_b32 v72, v4 offset:31488                           // 0000000048FC: D86C7B00 48000004
	ds_read_b32 v73, v4 offset:35840                           // 000000004904: D86C8C00 49000004
	ds_read_b32 v74, v4 offset:31520                           // 00000000490C: D86C7B20 4A000004
	ds_read_b32 v75, v4 offset:35872                           // 000000004914: D86C8C20 4B000004
	ds_read_b32 v76, v4 offset:31552                           // 00000000491C: D86C7B40 4C000004
	ds_read_b32 v77, v4 offset:35904                           // 000000004924: D86C8C40 4D000004
	ds_read_b32 v78, v4 offset:31584                           // 00000000492C: D86C7B60 4E000004
	ds_read_b32 v79, v4 offset:35936                           // 000000004934: D86C8C60 4F000004
	s_waitcnt lgkmcnt(0)                                       // 00000000493C: BF8CC07F
	s_mov_b64 exec, s[20:21]                                   // 000000004940: BEFE0114
	global_atomic_pk_add_f16 v80, v64, s[8:9]                  // 000000004944: DD388000 00084050
	s_mov_b64 exec, s[36:37]                                   // 00000000494C: BEFE0124
	s_mov_b64 exec, s[20:21]                                   // 000000004950: BEFE0114
	global_atomic_pk_add_f16 v80, v65, s[8:9] offset:256       // 000000004954: DD388100 00084150
	s_mov_b64 exec, s[36:37]                                   // 00000000495C: BEFE0124
	s_mov_b64 exec, s[22:23]                                   // 000000004960: BEFE0116
	global_atomic_pk_add_f16 v82, v66, s[8:9]                  // 000000004964: DD388000 00084252
	s_mov_b64 exec, s[36:37]                                   // 00000000496C: BEFE0124
	s_mov_b64 exec, s[22:23]                                   // 000000004970: BEFE0116
	global_atomic_pk_add_f16 v82, v67, s[8:9] offset:256       // 000000004974: DD388100 00084352
	s_mov_b64 exec, s[36:37]                                   // 00000000497C: BEFE0124
	s_mov_b64 exec, s[24:25]                                   // 000000004980: BEFE0118
	global_atomic_pk_add_f16 v84, v68, s[8:9]                  // 000000004984: DD388000 00084454
	s_mov_b64 exec, s[36:37]                                   // 00000000498C: BEFE0124
	s_mov_b64 exec, s[24:25]                                   // 000000004990: BEFE0118
	global_atomic_pk_add_f16 v84, v69, s[8:9] offset:256       // 000000004994: DD388100 00084554
	s_mov_b64 exec, s[36:37]                                   // 00000000499C: BEFE0124
	s_mov_b64 exec, s[26:27]                                   // 0000000049A0: BEFE011A
	global_atomic_pk_add_f16 v86, v70, s[8:9]                  // 0000000049A4: DD388000 00084656
	s_mov_b64 exec, s[36:37]                                   // 0000000049AC: BEFE0124
	s_mov_b64 exec, s[26:27]                                   // 0000000049B0: BEFE011A
	global_atomic_pk_add_f16 v86, v71, s[8:9] offset:256       // 0000000049B4: DD388100 00084756
	s_mov_b64 exec, s[36:37]                                   // 0000000049BC: BEFE0124
	s_mov_b64 exec, s[28:29]                                   // 0000000049C0: BEFE011C
	global_atomic_pk_add_f16 v88, v72, s[8:9]                  // 0000000049C4: DD388000 00084858
	s_mov_b64 exec, s[36:37]                                   // 0000000049CC: BEFE0124
	s_mov_b64 exec, s[28:29]                                   // 0000000049D0: BEFE011C
	global_atomic_pk_add_f16 v88, v73, s[8:9] offset:256       // 0000000049D4: DD388100 00084958
	s_mov_b64 exec, s[36:37]                                   // 0000000049DC: BEFE0124
	s_mov_b64 exec, s[30:31]                                   // 0000000049E0: BEFE011E
	global_atomic_pk_add_f16 v90, v74, s[8:9]                  // 0000000049E4: DD388000 00084A5A
	s_mov_b64 exec, s[36:37]                                   // 0000000049EC: BEFE0124
	s_mov_b64 exec, s[30:31]                                   // 0000000049F0: BEFE011E
	global_atomic_pk_add_f16 v90, v75, s[8:9] offset:256       // 0000000049F4: DD388100 00084B5A
	s_mov_b64 exec, s[36:37]                                   // 0000000049FC: BEFE0124
	s_mov_b64 exec, s[32:33]                                   // 000000004A00: BEFE0120
	global_atomic_pk_add_f16 v92, v76, s[8:9]                  // 000000004A04: DD388000 00084C5C
	s_mov_b64 exec, s[36:37]                                   // 000000004A0C: BEFE0124
	s_mov_b64 exec, s[32:33]                                   // 000000004A10: BEFE0120
	global_atomic_pk_add_f16 v92, v77, s[8:9] offset:256       // 000000004A14: DD388100 00084D5C
	s_mov_b64 exec, s[36:37]                                   // 000000004A1C: BEFE0124
	s_mov_b64 exec, s[34:35]                                   // 000000004A20: BEFE0122
	global_atomic_pk_add_f16 v94, v78, s[8:9]                  // 000000004A24: DD388000 00084E5E
	s_mov_b64 exec, s[36:37]                                   // 000000004A2C: BEFE0124
	s_mov_b64 exec, s[34:35]                                   // 000000004A30: BEFE0122
	global_atomic_pk_add_f16 v94, v79, s[8:9] offset:256       // 000000004A34: DD388100 00084F5E
	s_mov_b64 exec, s[36:37]                                   // 000000004A3C: BEFE0124
	s_add_u32 s8, s59, s8                                      // 000000004A40: 8008083B
	s_addc_u32 s9, 0, s9                                       // 000000004A44: 82090980
	s_addk_i32 s80, 0x100                                      // 000000004A48: B7500100
	s_cmp_lt_i32 s80, s81                                      // 000000004A4C: BF045150
	s_cbranch_scc0 label_08AF                                  // 000000004A50: BF84019A
	s_waitcnt vmcnt(21)                                        // 000000004A54: BF8C4F75
	s_barrier                                                  // 000000004A58: BF8A0000
	v_mfma_i32_16x16x32_i8 v[176:179], a[32:33], v[128:129], 0 // 000000004A5C: D3D700B0 0A030120
	v_mfma_i32_16x16x32_i8 v[176:179], a[34:35], v[130:131], v[176:179]// 000000004A64: D3D700B0 0EC30522
	buffer_load_dwordx4 a[0:3], v34, s[12:15], 0 offen         // 000000004A6C: E05C1000 80830022
	v_mfma_i32_16x16x32_i8 v[180:183], a[32:33], v[136:137], 0 // 000000004A74: D3D700B4 0A031120
	v_mfma_i32_16x16x32_i8 v[180:183], a[34:35], v[138:139], v[180:183]// 000000004A7C: D3D700B4 0ED31522
	v_mfma_i32_16x16x32_i8 v[184:187], a[36:37], v[128:129], 0 // 000000004A84: D3D700B8 0A030124
	v_mfma_i32_16x16x32_i8 v[184:187], a[38:39], v[130:131], v[184:187]// 000000004A8C: D3D700B8 0EE30526
	buffer_load_dwordx4 a[4:7], v35, s[12:15], 0 offen         // 000000004A94: E05C1000 80830423
	v_mfma_i32_16x16x32_i8 v[188:191], a[36:37], v[136:137], 0 // 000000004A9C: D3D700BC 0A031124
	v_mfma_i32_16x16x32_i8 v[188:191], a[38:39], v[138:139], v[188:191]// 000000004AA4: D3D700BC 0EF31526
	v_mfma_i32_16x16x32_i8 v[192:195], a[40:41], v[128:129], 0 // 000000004AAC: D3D700C0 0A030128
	v_mfma_i32_16x16x32_i8 v[192:195], a[42:43], v[130:131], v[192:195]// 000000004AB4: D3D700C0 0F03052A
	buffer_load_dwordx4 a[8:11], v36, s[12:15], 0 offen        // 000000004ABC: E05C1000 80830824
	v_mfma_i32_16x16x32_i8 v[196:199], a[40:41], v[136:137], 0 // 000000004AC4: D3D700C4 0A031128
	v_mfma_i32_16x16x32_i8 v[196:199], a[42:43], v[138:139], v[196:199]// 000000004ACC: D3D700C4 0F13152A
	v_mfma_i32_16x16x32_i8 v[200:203], a[44:45], v[128:129], 0 // 000000004AD4: D3D700C8 0A03012C
	v_mfma_i32_16x16x32_i8 v[200:203], a[46:47], v[130:131], v[200:203]// 000000004ADC: D3D700C8 0F23052E
	buffer_load_dwordx4 a[12:15], v37, s[12:15], 0 offen       // 000000004AE4: E05C1000 80830C25
	s_add_u32 s12, s78, s12                                    // 000000004AEC: 800C0C4E
	s_addc_u32 s13, 0, s13                                     // 000000004AF0: 820D0D80
	v_mfma_i32_16x16x32_i8 v[204:207], a[44:45], v[136:137], 0 // 000000004AF4: D3D700CC 0A03112C
	v_mfma_i32_16x16x32_i8 v[204:207], a[46:47], v[138:139], v[204:207]// 000000004AFC: D3D700CC 0F33152E
	s_waitcnt vmcnt(20)                                        // 000000004B04: BF8C4F74
	v_mfma_i32_16x16x32_i8 v[176:179], a[48:49], v[132:133], v[176:179]// 000000004B08: D3D700B0 0EC30930
	v_mfma_i32_16x16x32_i8 v[176:179], a[50:51], v[134:135], v[176:179]// 000000004B10: D3D700B0 0EC30D32
	buffer_load_dwordx4 a[16:19], v34, s[12:15], 0 offen       // 000000004B18: E05C1000 80831022
	v_mfma_i32_16x16x32_i8 v[180:183], a[48:49], v[140:141], v[180:183]// 000000004B20: D3D700B4 0ED31930
	v_mfma_i32_16x16x32_i8 v[180:183], a[50:51], v[142:143], v[180:183]// 000000004B28: D3D700B4 0ED31D32
	buffer_load_dword v11, v5, s[16:19], 0 offen               // 000000004B30: E0501000 80040B05
	v_mfma_i32_16x16x32_i8 v[184:187], a[52:53], v[132:133], v[184:187]// 000000004B38: D3D700B8 0EE30934
	v_mfma_i32_16x16x32_i8 v[184:187], a[54:55], v[134:135], v[184:187]// 000000004B40: D3D700B8 0EE30D36
	buffer_load_dwordx4 a[20:23], v35, s[12:15], 0 offen       // 000000004B48: E05C1000 80831423
	v_mfma_i32_16x16x32_i8 v[188:191], a[52:53], v[140:141], v[188:191]// 000000004B50: D3D700BC 0EF31934
	v_mfma_i32_16x16x32_i8 v[188:191], a[54:55], v[142:143], v[188:191]// 000000004B58: D3D700BC 0EF31D36
	v_mfma_i32_16x16x32_i8 v[192:195], a[56:57], v[132:133], v[192:195]// 000000004B60: D3D700C0 0F030938
	v_mfma_i32_16x16x32_i8 v[192:195], a[58:59], v[134:135], v[192:195]// 000000004B68: D3D700C0 0F030D3A
	buffer_load_dwordx4 a[24:27], v36, s[12:15], 0 offen       // 000000004B70: E05C1000 80831824
	v_mfma_i32_16x16x32_i8 v[196:199], a[56:57], v[140:141], v[196:199]// 000000004B78: D3D700C4 0F131938
	v_mfma_i32_16x16x32_i8 v[196:199], a[58:59], v[142:143], v[196:199]// 000000004B80: D3D700C4 0F131D3A
	v_mfma_i32_16x16x32_i8 v[200:203], a[60:61], v[132:133], v[200:203]// 000000004B88: D3D700C8 0F23093C
	v_mfma_i32_16x16x32_i8 v[200:203], a[62:63], v[134:135], v[200:203]// 000000004B90: D3D700C8 0F230D3E
	buffer_load_dwordx4 a[28:31], v37, s[12:15], 0 offen       // 000000004B98: E05C1000 80831C25
	v_mfma_i32_16x16x32_i8 v[204:207], a[60:61], v[140:141], v[204:207]// 000000004BA0: D3D700CC 0F33193C
	v_mfma_i32_16x16x32_i8 v[204:207], a[62:63], v[142:143], v[204:207]// 000000004BA8: D3D700CC 0F331D3E
	s_add_u32 s60, 0x200, s80                                  // 000000004BB0: 803C50FF 00000200
	s_cmp_lt_u32 s60, s81                                      // 000000004BB8: BF0A513C
	s_cselect_b32 s56, s56, 0                                  // 000000004BBC: 85388038
	s_cselect_b32 s78, s78, 0                                  // 000000004BC0: 854E804E
	s_cselect_b32 s79, s79, 0                                  // 000000004BC4: 854F804F
	s_add_u32 s12, s56, s12                                    // 000000004BC8: 800C0C38
	s_addc_u32 s13, 0, s13                                     // 000000004BCC: 820D0D80
	s_add_u32 s16, s79, s16                                    // 000000004BD0: 8010104F
	s_addc_u32 s17, 0, s17                                     // 000000004BD4: 82111180
	v_cvt_f32_i32_e32 v176, v176                               // 000000004BD8: 7F600BB0
	v_cvt_f32_i32_e32 v177, v177                               // 000000004BDC: 7F620BB1
	v_cvt_f32_i32_e32 v178, v178                               // 000000004BE0: 7F640BB2
	v_cvt_f32_i32_e32 v179, v179                               // 000000004BE4: 7F660BB3
	v_mul_f32_e32 v176, v22, v176                              // 000000004BE8: 0B616116
	v_mul_f32_e32 v177, v22, v177                              // 000000004BEC: 0B636316
	v_mul_f32_e32 v178, v22, v178                              // 000000004BF0: 0B656516
	v_mul_f32_e32 v179, v22, v179                              // 000000004BF4: 0B676716
	v_mul_f32_dpp v176, v12, v176 row_newbcast:0 row_mask:0xf bank_mask:0xf// 000000004BF8: 0B6160FA FF01500C
	v_mul_f32_dpp v177, v12, v177 row_newbcast:1 row_mask:0xf bank_mask:0xf// 000000004C00: 0B6362FA FF01510C
	v_mul_f32_dpp v178, v12, v178 row_newbcast:2 row_mask:0xf bank_mask:0xf// 000000004C08: 0B6564FA FF01520C
	v_mul_f32_dpp v179, v12, v179 row_newbcast:3 row_mask:0xf bank_mask:0xf// 000000004C10: 0B6766FA FF01530C
	v_mul_f32_e32 v176, v17, v176                              // 000000004C18: 0B616111
	v_mul_f32_e32 v177, v17, v177                              // 000000004C1C: 0B636311
	v_mul_f32_e32 v178, v17, v178                              // 000000004C20: 0B656511
	v_mul_f32_e32 v179, v17, v179                              // 000000004C24: 0B676711
	v_cvt_f32_i32_e32 v180, v180                               // 000000004C28: 7F680BB4
	v_cvt_f32_i32_e32 v181, v181                               // 000000004C2C: 7F6A0BB5
	v_cvt_f32_i32_e32 v182, v182                               // 000000004C30: 7F6C0BB6
	v_cvt_f32_i32_e32 v183, v183                               // 000000004C34: 7F6E0BB7
	v_mul_f32_e32 v180, v23, v180                              // 000000004C38: 0B696917
	v_mul_f32_e32 v181, v23, v181                              // 000000004C3C: 0B6B6B17
	v_mul_f32_e32 v182, v23, v182                              // 000000004C40: 0B6D6D17
	v_mul_f32_e32 v183, v23, v183                              // 000000004C44: 0B6F6F17
	v_mul_f32_dpp v180, v12, v180 row_newbcast:0 row_mask:0xf bank_mask:0xf// 000000004C48: 0B6968FA FF01500C
	v_mul_f32_dpp v181, v12, v181 row_newbcast:1 row_mask:0xf bank_mask:0xf// 000000004C50: 0B6B6AFA FF01510C
	v_mul_f32_dpp v182, v12, v182 row_newbcast:2 row_mask:0xf bank_mask:0xf// 000000004C58: 0B6D6CFA FF01520C
	v_mul_f32_dpp v183, v12, v183 row_newbcast:3 row_mask:0xf bank_mask:0xf// 000000004C60: 0B6F6EFA FF01530C
	v_mul_f32_e32 v180, v18, v180                              // 000000004C68: 0B696912
	v_mul_f32_e32 v181, v18, v181                              // 000000004C6C: 0B6B6B12
	v_mul_f32_e32 v182, v18, v182                              // 000000004C70: 0B6D6D12
	v_mul_f32_e32 v183, v18, v183                              // 000000004C74: 0B6F6F12
	v_cvt_f32_i32_e32 v184, v184                               // 000000004C78: 7F700BB8
	v_cvt_f32_i32_e32 v185, v185                               // 000000004C7C: 7F720BB9
	v_cvt_f32_i32_e32 v186, v186                               // 000000004C80: 7F740BBA
	v_cvt_f32_i32_e32 v187, v187                               // 000000004C84: 7F760BBB
	v_mul_f32_e32 v184, v22, v184                              // 000000004C88: 0B717116
	v_mul_f32_e32 v185, v22, v185                              // 000000004C8C: 0B737316
	v_mul_f32_e32 v186, v22, v186                              // 000000004C90: 0B757516
	v_mul_f32_e32 v187, v22, v187                              // 000000004C94: 0B777716
	v_mul_f32_dpp v184, v12, v184 row_newbcast:4 row_mask:0xf bank_mask:0xf// 000000004C98: 0B7170FA FF01540C
	v_mul_f32_dpp v185, v12, v185 row_newbcast:5 row_mask:0xf bank_mask:0xf// 000000004CA0: 0B7372FA FF01550C
	v_mul_f32_dpp v186, v12, v186 row_newbcast:6 row_mask:0xf bank_mask:0xf// 000000004CA8: 0B7574FA FF01560C
	v_mul_f32_dpp v187, v12, v187 row_newbcast:7 row_mask:0xf bank_mask:0xf// 000000004CB0: 0B7776FA FF01570C
	v_mul_f32_e32 v184, v17, v184                              // 000000004CB8: 0B717111
	v_mul_f32_e32 v185, v17, v185                              // 000000004CBC: 0B737311
	v_mul_f32_e32 v186, v17, v186                              // 000000004CC0: 0B757511
	v_mul_f32_e32 v187, v17, v187                              // 000000004CC4: 0B777711
	v_cvt_f32_i32_e32 v188, v188                               // 000000004CC8: 7F780BBC
	v_cvt_f32_i32_e32 v189, v189                               // 000000004CCC: 7F7A0BBD
	v_cvt_f32_i32_e32 v190, v190                               // 000000004CD0: 7F7C0BBE
	v_cvt_f32_i32_e32 v191, v191                               // 000000004CD4: 7F7E0BBF
	v_mul_f32_e32 v188, v23, v188                              // 000000004CD8: 0B797917
	v_mul_f32_e32 v189, v23, v189                              // 000000004CDC: 0B7B7B17
	v_mul_f32_e32 v190, v23, v190                              // 000000004CE0: 0B7D7D17
	v_mul_f32_e32 v191, v23, v191                              // 000000004CE4: 0B7F7F17
	v_mul_f32_dpp v188, v12, v188 row_newbcast:4 row_mask:0xf bank_mask:0xf// 000000004CE8: 0B7978FA FF01540C
	v_mul_f32_dpp v189, v12, v189 row_newbcast:5 row_mask:0xf bank_mask:0xf// 000000004CF0: 0B7B7AFA FF01550C
	v_mul_f32_dpp v190, v12, v190 row_newbcast:6 row_mask:0xf bank_mask:0xf// 000000004CF8: 0B7D7CFA FF01560C
	v_mul_f32_dpp v191, v12, v191 row_newbcast:7 row_mask:0xf bank_mask:0xf// 000000004D00: 0B7F7EFA FF01570C
	v_mul_f32_e32 v188, v18, v188                              // 000000004D08: 0B797912
	v_mul_f32_e32 v189, v18, v189                              // 000000004D0C: 0B7B7B12
	v_mul_f32_e32 v190, v18, v190                              // 000000004D10: 0B7D7D12
	v_mul_f32_e32 v191, v18, v191                              // 000000004D14: 0B7F7F12
	v_cvt_f32_i32_e32 v192, v192                               // 000000004D18: 7F800BC0
	v_cvt_f32_i32_e32 v193, v193                               // 000000004D1C: 7F820BC1
	v_cvt_f32_i32_e32 v194, v194                               // 000000004D20: 7F840BC2
	v_cvt_f32_i32_e32 v195, v195                               // 000000004D24: 7F860BC3
	v_mul_f32_e32 v192, v22, v192                              // 000000004D28: 0B818116
	v_mul_f32_e32 v193, v22, v193                              // 000000004D2C: 0B838316
	v_mul_f32_e32 v194, v22, v194                              // 000000004D30: 0B858516
	v_mul_f32_e32 v195, v22, v195                              // 000000004D34: 0B878716
	v_mul_f32_dpp v192, v12, v192 row_newbcast:8 row_mask:0xf bank_mask:0xf// 000000004D38: 0B8180FA FF01580C
	v_mul_f32_dpp v193, v12, v193 row_newbcast:9 row_mask:0xf bank_mask:0xf// 000000004D40: 0B8382FA FF01590C
	v_mul_f32_dpp v194, v12, v194 row_newbcast:10 row_mask:0xf bank_mask:0xf// 000000004D48: 0B8584FA FF015A0C
	v_mul_f32_dpp v195, v12, v195 row_newbcast:11 row_mask:0xf bank_mask:0xf// 000000004D50: 0B8786FA FF015B0C
	v_mul_f32_e32 v192, v17, v192                              // 000000004D58: 0B818111
	v_mul_f32_e32 v193, v17, v193                              // 000000004D5C: 0B838311
	v_mul_f32_e32 v194, v17, v194                              // 000000004D60: 0B858511
	v_mul_f32_e32 v195, v17, v195                              // 000000004D64: 0B878711
	v_cvt_f32_i32_e32 v196, v196                               // 000000004D68: 7F880BC4
	v_cvt_f32_i32_e32 v197, v197                               // 000000004D6C: 7F8A0BC5
	v_cvt_f32_i32_e32 v198, v198                               // 000000004D70: 7F8C0BC6
	v_cvt_f32_i32_e32 v199, v199                               // 000000004D74: 7F8E0BC7
	v_mul_f32_e32 v196, v23, v196                              // 000000004D78: 0B898917
	v_mul_f32_e32 v197, v23, v197                              // 000000004D7C: 0B8B8B17
	v_mul_f32_e32 v198, v23, v198                              // 000000004D80: 0B8D8D17
	v_mul_f32_e32 v199, v23, v199                              // 000000004D84: 0B8F8F17
	v_mul_f32_dpp v196, v12, v196 row_newbcast:8 row_mask:0xf bank_mask:0xf// 000000004D88: 0B8988FA FF01580C
	v_mul_f32_dpp v197, v12, v197 row_newbcast:9 row_mask:0xf bank_mask:0xf// 000000004D90: 0B8B8AFA FF01590C
	v_mul_f32_dpp v198, v12, v198 row_newbcast:10 row_mask:0xf bank_mask:0xf// 000000004D98: 0B8D8CFA FF015A0C
	v_mul_f32_dpp v199, v12, v199 row_newbcast:11 row_mask:0xf bank_mask:0xf// 000000004DA0: 0B8F8EFA FF015B0C
	v_mul_f32_e32 v196, v18, v196                              // 000000004DA8: 0B898912
	v_mul_f32_e32 v197, v18, v197                              // 000000004DAC: 0B8B8B12
	v_mul_f32_e32 v198, v18, v198                              // 000000004DB0: 0B8D8D12
	v_mul_f32_e32 v199, v18, v199                              // 000000004DB4: 0B8F8F12
	v_cvt_f32_i32_e32 v200, v200                               // 000000004DB8: 7F900BC8
	v_cvt_f32_i32_e32 v201, v201                               // 000000004DBC: 7F920BC9
	v_cvt_f32_i32_e32 v202, v202                               // 000000004DC0: 7F940BCA
	v_cvt_f32_i32_e32 v203, v203                               // 000000004DC4: 7F960BCB
	v_mul_f32_e32 v200, v22, v200                              // 000000004DC8: 0B919116
	v_mul_f32_e32 v201, v22, v201                              // 000000004DCC: 0B939316
	v_mul_f32_e32 v202, v22, v202                              // 000000004DD0: 0B959516
	v_mul_f32_e32 v203, v22, v203                              // 000000004DD4: 0B979716
	v_mul_f32_dpp v200, v12, v200 row_newbcast:12 row_mask:0xf bank_mask:0xf// 000000004DD8: 0B9190FA FF015C0C
	v_mul_f32_dpp v201, v12, v201 row_newbcast:13 row_mask:0xf bank_mask:0xf// 000000004DE0: 0B9392FA FF015D0C
	v_mul_f32_dpp v202, v12, v202 row_newbcast:14 row_mask:0xf bank_mask:0xf// 000000004DE8: 0B9594FA FF015E0C
	v_mul_f32_dpp v203, v12, v203 row_newbcast:15 row_mask:0xf bank_mask:0xf// 000000004DF0: 0B9796FA FF015F0C
	v_mul_f32_e32 v200, v17, v200                              // 000000004DF8: 0B919111
	v_mul_f32_e32 v201, v17, v201                              // 000000004DFC: 0B939311
	v_mul_f32_e32 v202, v17, v202                              // 000000004E00: 0B959511
	v_mul_f32_e32 v203, v17, v203                              // 000000004E04: 0B979711
	v_cvt_f32_i32_e32 v204, v204                               // 000000004E08: 7F980BCC
	v_cvt_f32_i32_e32 v205, v205                               // 000000004E0C: 7F9A0BCD
	v_cvt_f32_i32_e32 v206, v206                               // 000000004E10: 7F9C0BCE
	v_cvt_f32_i32_e32 v207, v207                               // 000000004E14: 7F9E0BCF
	v_mul_f32_e32 v204, v23, v204                              // 000000004E18: 0B999917
	v_mul_f32_e32 v205, v23, v205                              // 000000004E1C: 0B9B9B17
	v_mul_f32_e32 v206, v23, v206                              // 000000004E20: 0B9D9D17
	v_mul_f32_e32 v207, v23, v207                              // 000000004E24: 0B9F9F17
	v_mul_f32_dpp v204, v12, v204 row_newbcast:12 row_mask:0xf bank_mask:0xf// 000000004E28: 0B9998FA FF015C0C
	v_mul_f32_dpp v205, v12, v205 row_newbcast:13 row_mask:0xf bank_mask:0xf// 000000004E30: 0B9B9AFA FF015D0C
	v_mul_f32_dpp v206, v12, v206 row_newbcast:14 row_mask:0xf bank_mask:0xf// 000000004E38: 0B9D9CFA FF015E0C
	v_mul_f32_dpp v207, v12, v207 row_newbcast:15 row_mask:0xf bank_mask:0xf// 000000004E40: 0B9F9EFA FF015F0C
	v_mul_f32_e32 v204, v18, v204                              // 000000004E48: 0B999912
	v_mul_f32_e32 v205, v18, v205                              // 000000004E4C: 0B9B9B12
	v_mul_f32_e32 v206, v18, v206                              // 000000004E50: 0B9D9D12
	v_mul_f32_e32 v207, v18, v207                              // 000000004E54: 0B9F9F12
	v_cvt_pkrtz_f16_f32 v176, v176, v177                       // 000000004E58: D29600B0 000363B0
	v_cvt_pkrtz_f16_f32 v177, v178, v179                       // 000000004E60: D29600B1 000367B2
	v_cvt_pkrtz_f16_f32 v178, v180, v181                       // 000000004E68: D29600B2 00036BB4
	v_cvt_pkrtz_f16_f32 v179, v182, v183                       // 000000004E70: D29600B3 00036FB6
	v_cvt_pkrtz_f16_f32 v180, v184, v185                       // 000000004E78: D29600B4 000373B8
	v_cvt_pkrtz_f16_f32 v181, v186, v187                       // 000000004E80: D29600B5 000377BA
	v_cvt_pkrtz_f16_f32 v182, v188, v189                       // 000000004E88: D29600B6 00037BBC
	v_cvt_pkrtz_f16_f32 v183, v190, v191                       // 000000004E90: D29600B7 00037FBE
	v_cvt_pkrtz_f16_f32 v184, v192, v193                       // 000000004E98: D29600B8 000383C0
	v_cvt_pkrtz_f16_f32 v185, v194, v195                       // 000000004EA0: D29600B9 000387C2
	v_cvt_pkrtz_f16_f32 v186, v196, v197                       // 000000004EA8: D29600BA 00038BC4
	v_cvt_pkrtz_f16_f32 v187, v198, v199                       // 000000004EB0: D29600BB 00038FC6
	v_cvt_pkrtz_f16_f32 v188, v200, v201                       // 000000004EB8: D29600BC 000393C8
	v_cvt_pkrtz_f16_f32 v189, v202, v203                       // 000000004EC0: D29600BD 000397CA
	v_cvt_pkrtz_f16_f32 v190, v204, v205                       // 000000004EC8: D29600BE 00039BCC
	v_cvt_pkrtz_f16_f32 v191, v206, v207                       // 000000004ED0: D29600BF 00039FCE
	ds_write_b64 v3, v[176:177] offset:22784                   // 000000004ED8: D89A5900 0000B003
	ds_write_b64 v3, v[178:179] offset:31488                   // 000000004EE0: D89A7B00 0000B203
	ds_write_b64 v3, v[180:181] offset:24960                   // 000000004EE8: D89A6180 0000B403
	ds_write_b64 v3, v[182:183] offset:33664                   // 000000004EF0: D89A8380 0000B603
	ds_write_b64 v3, v[184:185] offset:27136                   // 000000004EF8: D89A6A00 0000B803
	ds_write_b64 v3, v[186:187] offset:35840                   // 000000004F00: D89A8C00 0000BA03
	ds_write_b64 v3, v[188:189] offset:29312                   // 000000004F08: D89A7280 0000BC03
	ds_write_b64 v3, v[190:191] offset:38016                   // 000000004F10: D89A9480 0000BE03
	s_waitcnt lgkmcnt(0)                                       // 000000004F18: BF8CC07F
	s_barrier                                                  // 000000004F1C: BF8A0000
	ds_read_b32 v64, v4 offset:22784                           // 000000004F20: D86C5900 40000004
	ds_read_b32 v65, v4 offset:27136                           // 000000004F28: D86C6A00 41000004
	ds_read_b32 v66, v4 offset:22816                           // 000000004F30: D86C5920 42000004
	ds_read_b32 v67, v4 offset:27168                           // 000000004F38: D86C6A20 43000004
	ds_read_b32 v68, v4 offset:22848                           // 000000004F40: D86C5940 44000004
	ds_read_b32 v69, v4 offset:27200                           // 000000004F48: D86C6A40 45000004
	ds_read_b32 v70, v4 offset:22880                           // 000000004F50: D86C5960 46000004
	ds_read_b32 v71, v4 offset:27232                           // 000000004F58: D86C6A60 47000004
	ds_read_b32 v72, v4 offset:31488                           // 000000004F60: D86C7B00 48000004
	ds_read_b32 v73, v4 offset:35840                           // 000000004F68: D86C8C00 49000004
	ds_read_b32 v74, v4 offset:31520                           // 000000004F70: D86C7B20 4A000004
	ds_read_b32 v75, v4 offset:35872                           // 000000004F78: D86C8C20 4B000004
	ds_read_b32 v76, v4 offset:31552                           // 000000004F80: D86C7B40 4C000004
	ds_read_b32 v77, v4 offset:35904                           // 000000004F88: D86C8C40 4D000004
	ds_read_b32 v78, v4 offset:31584                           // 000000004F90: D86C7B60 4E000004
	ds_read_b32 v79, v4 offset:35936                           // 000000004F98: D86C8C60 4F000004
	s_waitcnt lgkmcnt(0)                                       // 000000004FA0: BF8CC07F
	s_mov_b64 exec, s[20:21]                                   // 000000004FA4: BEFE0114
	global_atomic_pk_add_f16 v80, v64, s[8:9]                  // 000000004FA8: DD388000 00084050
	s_mov_b64 exec, s[36:37]                                   // 000000004FB0: BEFE0124
	s_mov_b64 exec, s[20:21]                                   // 000000004FB4: BEFE0114
	global_atomic_pk_add_f16 v80, v65, s[8:9] offset:256       // 000000004FB8: DD388100 00084150
	s_mov_b64 exec, s[36:37]                                   // 000000004FC0: BEFE0124
	s_mov_b64 exec, s[22:23]                                   // 000000004FC4: BEFE0116
	global_atomic_pk_add_f16 v82, v66, s[8:9]                  // 000000004FC8: DD388000 00084252
	s_mov_b64 exec, s[36:37]                                   // 000000004FD0: BEFE0124
	s_mov_b64 exec, s[22:23]                                   // 000000004FD4: BEFE0116
	global_atomic_pk_add_f16 v82, v67, s[8:9] offset:256       // 000000004FD8: DD388100 00084352
	s_mov_b64 exec, s[36:37]                                   // 000000004FE0: BEFE0124
	s_mov_b64 exec, s[24:25]                                   // 000000004FE4: BEFE0118
	global_atomic_pk_add_f16 v84, v68, s[8:9]                  // 000000004FE8: DD388000 00084454
	s_mov_b64 exec, s[36:37]                                   // 000000004FF0: BEFE0124
	s_mov_b64 exec, s[24:25]                                   // 000000004FF4: BEFE0118
	global_atomic_pk_add_f16 v84, v69, s[8:9] offset:256       // 000000004FF8: DD388100 00084554
	s_mov_b64 exec, s[36:37]                                   // 000000005000: BEFE0124
	s_mov_b64 exec, s[26:27]                                   // 000000005004: BEFE011A
	global_atomic_pk_add_f16 v86, v70, s[8:9]                  // 000000005008: DD388000 00084656
	s_mov_b64 exec, s[36:37]                                   // 000000005010: BEFE0124
	s_mov_b64 exec, s[26:27]                                   // 000000005014: BEFE011A
	global_atomic_pk_add_f16 v86, v71, s[8:9] offset:256       // 000000005018: DD388100 00084756
	s_mov_b64 exec, s[36:37]                                   // 000000005020: BEFE0124
	s_mov_b64 exec, s[28:29]                                   // 000000005024: BEFE011C
	global_atomic_pk_add_f16 v88, v72, s[8:9]                  // 000000005028: DD388000 00084858
	s_mov_b64 exec, s[36:37]                                   // 000000005030: BEFE0124
	s_mov_b64 exec, s[28:29]                                   // 000000005034: BEFE011C
	global_atomic_pk_add_f16 v88, v73, s[8:9] offset:256       // 000000005038: DD388100 00084958
	s_mov_b64 exec, s[36:37]                                   // 000000005040: BEFE0124
	s_mov_b64 exec, s[30:31]                                   // 000000005044: BEFE011E
	global_atomic_pk_add_f16 v90, v74, s[8:9]                  // 000000005048: DD388000 00084A5A
	s_mov_b64 exec, s[36:37]                                   // 000000005050: BEFE0124
	s_mov_b64 exec, s[30:31]                                   // 000000005054: BEFE011E
	global_atomic_pk_add_f16 v90, v75, s[8:9] offset:256       // 000000005058: DD388100 00084B5A
	s_mov_b64 exec, s[36:37]                                   // 000000005060: BEFE0124
	s_mov_b64 exec, s[32:33]                                   // 000000005064: BEFE0120
	global_atomic_pk_add_f16 v92, v76, s[8:9]                  // 000000005068: DD388000 00084C5C
	s_mov_b64 exec, s[36:37]                                   // 000000005070: BEFE0124
	s_mov_b64 exec, s[32:33]                                   // 000000005074: BEFE0120
	global_atomic_pk_add_f16 v92, v77, s[8:9] offset:256       // 000000005078: DD388100 00084D5C
	s_mov_b64 exec, s[36:37]                                   // 000000005080: BEFE0124
	s_mov_b64 exec, s[34:35]                                   // 000000005084: BEFE0122
	global_atomic_pk_add_f16 v94, v78, s[8:9]                  // 000000005088: DD388000 00084E5E
	s_mov_b64 exec, s[36:37]                                   // 000000005090: BEFE0124
	s_mov_b64 exec, s[34:35]                                   // 000000005094: BEFE0122
	global_atomic_pk_add_f16 v94, v79, s[8:9] offset:256       // 000000005098: DD388100 00084F5E
	s_mov_b64 exec, s[36:37]                                   // 0000000050A0: BEFE0124
	s_add_u32 s8, s59, s8                                      // 0000000050A4: 8008083B
	s_addc_u32 s9, 0, s9                                       // 0000000050A8: 82090980
	s_addk_i32 s80, 0x100                                      // 0000000050AC: B7500100
	s_cmp_lt_i32 s80, s81                                      // 0000000050B0: BF045150
	s_cbranch_scc0 label_08AF                                  // 0000000050B4: BF840001
	s_branch label_057C                                        // 0000000050B8: BF82FCCD

00000000000050bc <label_08AF>:
	s_nop 0                                                    // 0000000050BC: BF800000
	s_nop 0                                                    // 0000000050C0: BF800000
	s_branch label_0ED1                                        // 0000000050C4: BF82061F

00000000000050c8 <label_08B2>:
	s_waitcnt vmcnt(0) lgkmcnt(0)                              // 0000000050C8: BF8C0070
	s_barrier                                                  // 0000000050CC: BF8A0000
	v_mfma_i32_16x16x32_i8 v[128:131], a[0:1], v[144:145], v[128:131]// 0000000050D0: D3D70080 0E032100
	buffer_load_dwordx4 a[32:35], v32, s[24:27], 0 offen       // 0000000050D8: E05C1000 80862020
	v_mfma_i32_16x16x32_i8 v[128:131], a[2:3], v[146:147], v[128:131]// 0000000050E0: D3D70080 0E032502
	v_mfma_i32_16x16x32_i8 v[128:131], a[4:5], v[148:149], v[128:131]// 0000000050E8: D3D70080 0E032904
	buffer_load_dword v24, s[20:23], 0 offen lds               // 0000000050F0: E0511000 80050018
	s_add_u32 m0, 0x100, s50                                   // 0000000050F8: 807C32FF 00000100
	ds_read_b128 v[176:179], v2 offset:8320                    // 000000005100: D9FE2080 B0000002
	v_mfma_i32_16x16x32_i8 v[128:131], a[6:7], v[150:151], v[128:131]// 000000005108: D3D70080 0E032D06
	v_mfma_i32_16x16x32_i8 v[128:131], a[8:9], v[152:153], v[128:131]// 000000005110: D3D70080 0E033108
	buffer_load_dwordx4 a[36:39], v32, s[24:27], 0 offen offset:1024// 000000005118: E05C1400 80862420
	v_mfma_i32_16x16x32_i8 v[128:131], a[10:11], v[154:155], v[128:131]// 000000005120: D3D70080 0E03350A
	v_mfma_i32_16x16x32_i8 v[128:131], a[12:13], v[156:157], v[128:131]// 000000005128: D3D70080 0E03390C
	buffer_load_dword v25, s[20:23], 0 offen lds               // 000000005130: E0511000 80050019
	s_add_u32 m0, 0x200, s50                                   // 000000005138: 807C32FF 00000200
	ds_read_b128 v[180:183], v2 offset:8384                    // 000000005140: D9FE20C0 B4000002
	v_mfma_i32_16x16x32_i8 v[128:131], a[14:15], v[158:159], v[128:131]// 000000005148: D3D70080 0E033D0E
	v_mfma_i32_16x16x32_i8 v[132:135], a[0:1], v[160:161], v[132:135]// 000000005150: D3D70084 0E134100
	buffer_load_dwordx4 a[40:43], v32, s[24:27], 0 offen offset:2048// 000000005158: E05C1800 80862820
	v_mfma_i32_16x16x32_i8 v[132:135], a[2:3], v[162:163], v[132:135]// 000000005160: D3D70084 0E134502
	v_mfma_i32_16x16x32_i8 v[132:135], a[4:5], v[164:165], v[132:135]// 000000005168: D3D70084 0E134904
	buffer_load_dword v26, s[20:23], 0 offen lds               // 000000005170: E0511000 8005001A
	s_add_u32 m0, 0x300, s50                                   // 000000005178: 807C32FF 00000300
	ds_read_b128 v[184:187], v2 offset:8448                    // 000000005180: D9FE2100 B8000002
	v_mfma_i32_16x16x32_i8 v[132:135], a[6:7], v[166:167], v[132:135]// 000000005188: D3D70084 0E134D06
	v_mfma_i32_16x16x32_i8 v[132:135], a[8:9], v[168:169], v[132:135]// 000000005190: D3D70084 0E135108
	buffer_load_dwordx4 a[44:47], v32, s[24:27], 0 offen offset:3072// 000000005198: E05C1C00 80862C20
	v_mfma_i32_16x16x32_i8 v[132:135], a[10:11], v[170:171], v[132:135]// 0000000051A0: D3D70084 0E13550A
	v_mfma_i32_16x16x32_i8 v[132:135], a[12:13], v[172:173], v[132:135]// 0000000051A8: D3D70084 0E13590C
	buffer_load_dword v27, s[20:23], 0 offen lds               // 0000000051B0: E0511000 8005001B
	s_add_u32 m0, 0x400, s50                                   // 0000000051B8: 807C32FF 00000400
	ds_read_b128 v[188:191], v2 offset:8512                    // 0000000051C0: D9FE2140 BC000002
	v_mfma_i32_16x16x32_i8 v[132:135], a[14:15], v[174:175], v[132:135]// 0000000051C8: D3D70084 0E135D0E
	v_mfma_i32_16x16x32_i8 v[136:139], a[16:17], v[144:145], v[136:139]// 0000000051D0: D3D70088 0E232110
	buffer_load_dwordx4 a[48:51], v33, s[24:27], 0 offen       // 0000000051D8: E05C1000 80863021
	v_mfma_i32_16x16x32_i8 v[136:139], a[18:19], v[146:147], v[136:139]// 0000000051E0: D3D70088 0E232512
	v_mfma_i32_16x16x32_i8 v[136:139], a[20:21], v[148:149], v[136:139]// 0000000051E8: D3D70088 0E232914
	buffer_load_dword v28, s[20:23], 0 offen lds               // 0000000051F0: E0511000 8005001C
	s_add_u32 m0, 0x500, s50                                   // 0000000051F8: 807C32FF 00000500
	ds_read_b128 v[192:195], v2 offset:9344                    // 000000005200: D9FE2480 C0000002
	v_mfma_i32_16x16x32_i8 v[136:139], a[22:23], v[150:151], v[136:139]// 000000005208: D3D70088 0E232D16
	v_mfma_i32_16x16x32_i8 v[136:139], a[24:25], v[152:153], v[136:139]// 000000005210: D3D70088 0E233118
	buffer_load_dwordx4 a[52:55], v33, s[24:27], 0 offen offset:1024// 000000005218: E05C1400 80863421
	v_mfma_i32_16x16x32_i8 v[136:139], a[26:27], v[154:155], v[136:139]// 000000005220: D3D70088 0E23351A
	v_mfma_i32_16x16x32_i8 v[136:139], a[28:29], v[156:157], v[136:139]// 000000005228: D3D70088 0E23391C
	buffer_load_dword v29, s[20:23], 0 offen lds               // 000000005230: E0511000 8005001D
	s_add_u32 m0, 0x600, s50                                   // 000000005238: 807C32FF 00000600
	ds_read_b128 v[196:199], v2 offset:9408                    // 000000005240: D9FE24C0 C4000002
	v_mfma_i32_16x16x32_i8 v[136:139], a[30:31], v[158:159], v[136:139]// 000000005248: D3D70088 0E233D1E
	v_mfma_i32_16x16x32_i8 v[140:143], a[16:17], v[160:161], v[140:143]// 000000005250: D3D7008C 0E334110
	buffer_load_dwordx4 a[56:59], v33, s[24:27], 0 offen offset:2048// 000000005258: E05C1800 80863821
	v_mfma_i32_16x16x32_i8 v[140:143], a[18:19], v[162:163], v[140:143]// 000000005260: D3D7008C 0E334512
	v_mfma_i32_16x16x32_i8 v[140:143], a[20:21], v[164:165], v[140:143]// 000000005268: D3D7008C 0E334914
	buffer_load_dword v30, s[20:23], 0 offen lds               // 000000005270: E0511000 8005001E
	s_add_u32 m0, 0x700, s50                                   // 000000005278: 807C32FF 00000700
	ds_read_b128 v[200:203], v2 offset:9472                    // 000000005280: D9FE2500 C8000002
	v_mfma_i32_16x16x32_i8 v[140:143], a[22:23], v[166:167], v[140:143]// 000000005288: D3D7008C 0E334D16
	v_mfma_i32_16x16x32_i8 v[140:143], a[24:25], v[168:169], v[140:143]// 000000005290: D3D7008C 0E335118
	buffer_load_dwordx4 a[60:63], v33, s[24:27], 0 offen offset:3072// 000000005298: E05C1C00 80863C21
	v_mfma_i32_16x16x32_i8 v[140:143], a[26:27], v[170:171], v[140:143]// 0000000052A0: D3D7008C 0E33551A
	v_mfma_i32_16x16x32_i8 v[140:143], a[28:29], v[172:173], v[140:143]// 0000000052A8: D3D7008C 0E33591C
	buffer_load_dword v31, s[20:23], 0 offen lds               // 0000000052B0: E0511000 8005001F
	s_add_u32 m0, 0, s51                                       // 0000000052B8: 807C3380
	ds_read_b128 v[204:207], v2 offset:9536                    // 0000000052BC: D9FE2540 CC000002
	v_mfma_i32_16x16x32_i8 v[140:143], a[30:31], v[174:175], v[140:143]// 0000000052C4: D3D7008C 0E335D1E
	s_add_u32 s60, 0x300, s80                                  // 0000000052CC: 803C50FF 00000300
	s_cmp_lt_u32 s60, s81                                      // 0000000052D4: BF0A513C
	s_cselect_b32 s57, s57, 0                                  // 0000000052D8: 85398039
	s_add_u32 s60, 0x200, s80                                  // 0000000052DC: 803C50FF 00000200
	s_cmp_lt_u32 s60, s81                                      // 0000000052E4: BF0A513C
	s_cselect_b32 s58, s58, 0                                  // 0000000052E8: 853A803A
	s_add_u32 s20, s57, s20                                    // 0000000052EC: 80141439
	s_addc_u32 s21, 0, s21                                     // 0000000052F0: 82151580
	s_add_u32 s24, s58, s24                                    // 0000000052F4: 8018183A
	s_addc_u32 s25, 0, s25                                     // 0000000052F8: 82191980
	s_addk_i32 s80, 0x100                                      // 0000000052FC: B7500100
	s_cmp_lt_i32 s80, s81                                      // 000000005300: BF045150
	s_cbranch_scc0 label_09D3                                  // 000000005304: BF840091
	s_waitcnt vmcnt(0) lgkmcnt(0)                              // 000000005308: BF8C0070
	s_barrier                                                  // 00000000530C: BF8A0000
	v_mfma_i32_16x16x32_i8 v[128:131], a[32:33], v[176:177], v[128:131]// 000000005310: D3D70080 0E036120
	buffer_load_dwordx4 a[0:3], v32, s[24:27], 0 offen         // 000000005318: E05C1000 80860020
	v_mfma_i32_16x16x32_i8 v[128:131], a[34:35], v[178:179], v[128:131]// 000000005320: D3D70080 0E036522
	v_mfma_i32_16x16x32_i8 v[128:131], a[36:37], v[180:181], v[128:131]// 000000005328: D3D70080 0E036924
	buffer_load_dword v24, s[20:23], 0 offen lds               // 000000005330: E0511000 80050018
	s_add_u32 m0, 0x100, s51                                   // 000000005338: 807C33FF 00000100
	ds_read_b128 v[144:147], v2                                // 000000005340: D9FE0000 90000002
	v_mfma_i32_16x16x32_i8 v[128:131], a[38:39], v[182:183], v[128:131]// 000000005348: D3D70080 0E036D26
	v_mfma_i32_16x16x32_i8 v[128:131], a[40:41], v[184:185], v[128:131]// 000000005350: D3D70080 0E037128
	buffer_load_dwordx4 a[4:7], v32, s[24:27], 0 offen offset:1024// 000000005358: E05C1400 80860420
	v_mfma_i32_16x16x32_i8 v[128:131], a[42:43], v[186:187], v[128:131]// 000000005360: D3D70080 0E03752A
	v_mfma_i32_16x16x32_i8 v[128:131], a[44:45], v[188:189], v[128:131]// 000000005368: D3D70080 0E03792C
	buffer_load_dword v25, s[20:23], 0 offen lds               // 000000005370: E0511000 80050019
	s_add_u32 m0, 0x200, s51                                   // 000000005378: 807C33FF 00000200
	ds_read_b128 v[148:151], v2 offset:64                      // 000000005380: D9FE0040 94000002
	v_mfma_i32_16x16x32_i8 v[128:131], a[46:47], v[190:191], v[128:131]// 000000005388: D3D70080 0E037D2E
	v_mfma_i32_16x16x32_i8 v[132:135], a[32:33], v[192:193], v[132:135]// 000000005390: D3D70084 0E138120
	buffer_load_dwordx4 a[8:11], v32, s[24:27], 0 offen offset:2048// 000000005398: E05C1800 80860820
	v_mfma_i32_16x16x32_i8 v[132:135], a[34:35], v[194:195], v[132:135]// 0000000053A0: D3D70084 0E138522
	v_mfma_i32_16x16x32_i8 v[132:135], a[36:37], v[196:197], v[132:135]// 0000000053A8: D3D70084 0E138924
	buffer_load_dword v26, s[20:23], 0 offen lds               // 0000000053B0: E0511000 8005001A
	s_add_u32 m0, 0x300, s51                                   // 0000000053B8: 807C33FF 00000300
	ds_read_b128 v[152:155], v2 offset:128                     // 0000000053C0: D9FE0080 98000002
	v_mfma_i32_16x16x32_i8 v[132:135], a[38:39], v[198:199], v[132:135]// 0000000053C8: D3D70084 0E138D26
	v_mfma_i32_16x16x32_i8 v[132:135], a[40:41], v[200:201], v[132:135]// 0000000053D0: D3D70084 0E139128
	buffer_load_dwordx4 a[12:15], v32, s[24:27], 0 offen offset:3072// 0000000053D8: E05C1C00 80860C20
	v_mfma_i32_16x16x32_i8 v[132:135], a[42:43], v[202:203], v[132:135]// 0000000053E0: D3D70084 0E13952A
	v_mfma_i32_16x16x32_i8 v[132:135], a[44:45], v[204:205], v[132:135]// 0000000053E8: D3D70084 0E13992C
	buffer_load_dword v27, s[20:23], 0 offen lds               // 0000000053F0: E0511000 8005001B
	s_add_u32 m0, 0x400, s51                                   // 0000000053F8: 807C33FF 00000400
	ds_read_b128 v[156:159], v2 offset:192                     // 000000005400: D9FE00C0 9C000002
	v_mfma_i32_16x16x32_i8 v[132:135], a[46:47], v[206:207], v[132:135]// 000000005408: D3D70084 0E139D2E
	v_mfma_i32_16x16x32_i8 v[136:139], a[48:49], v[176:177], v[136:139]// 000000005410: D3D70088 0E236130
	buffer_load_dwordx4 a[16:19], v33, s[24:27], 0 offen       // 000000005418: E05C1000 80861021
	v_mfma_i32_16x16x32_i8 v[136:139], a[50:51], v[178:179], v[136:139]// 000000005420: D3D70088 0E236532
	v_mfma_i32_16x16x32_i8 v[136:139], a[52:53], v[180:181], v[136:139]// 000000005428: D3D70088 0E236934
	buffer_load_dword v28, s[20:23], 0 offen lds               // 000000005430: E0511000 8005001C
	s_add_u32 m0, 0x500, s51                                   // 000000005438: 807C33FF 00000500
	ds_read_b128 v[160:163], v2 offset:1024                    // 000000005440: D9FE0400 A0000002
	v_mfma_i32_16x16x32_i8 v[136:139], a[54:55], v[182:183], v[136:139]// 000000005448: D3D70088 0E236D36
	v_mfma_i32_16x16x32_i8 v[136:139], a[56:57], v[184:185], v[136:139]// 000000005450: D3D70088 0E237138
	buffer_load_dwordx4 a[20:23], v33, s[24:27], 0 offen offset:1024// 000000005458: E05C1400 80861421
	v_mfma_i32_16x16x32_i8 v[136:139], a[58:59], v[186:187], v[136:139]// 000000005460: D3D70088 0E23753A
	v_mfma_i32_16x16x32_i8 v[136:139], a[60:61], v[188:189], v[136:139]// 000000005468: D3D70088 0E23793C
	buffer_load_dword v29, s[20:23], 0 offen lds               // 000000005470: E0511000 8005001D
	s_add_u32 m0, 0x600, s51                                   // 000000005478: 807C33FF 00000600
	ds_read_b128 v[164:167], v2 offset:1088                    // 000000005480: D9FE0440 A4000002
	v_mfma_i32_16x16x32_i8 v[136:139], a[62:63], v[190:191], v[136:139]// 000000005488: D3D70088 0E237D3E
	v_mfma_i32_16x16x32_i8 v[140:143], a[48:49], v[192:193], v[140:143]// 000000005490: D3D7008C 0E338130
	buffer_load_dwordx4 a[24:27], v33, s[24:27], 0 offen offset:2048// 000000005498: E05C1800 80861821
	v_mfma_i32_16x16x32_i8 v[140:143], a[50:51], v[194:195], v[140:143]// 0000000054A0: D3D7008C 0E338532
	v_mfma_i32_16x16x32_i8 v[140:143], a[52:53], v[196:197], v[140:143]// 0000000054A8: D3D7008C 0E338934
	buffer_load_dword v30, s[20:23], 0 offen lds               // 0000000054B0: E0511000 8005001E
	s_add_u32 m0, 0x700, s51                                   // 0000000054B8: 807C33FF 00000700
	ds_read_b128 v[168:171], v2 offset:1152                    // 0000000054C0: D9FE0480 A8000002
	v_mfma_i32_16x16x32_i8 v[140:143], a[54:55], v[198:199], v[140:143]// 0000000054C8: D3D7008C 0E338D36
	v_mfma_i32_16x16x32_i8 v[140:143], a[56:57], v[200:201], v[140:143]// 0000000054D0: D3D7008C 0E339138
	buffer_load_dwordx4 a[28:31], v33, s[24:27], 0 offen offset:3072// 0000000054D8: E05C1C00 80861C21
	v_mfma_i32_16x16x32_i8 v[140:143], a[58:59], v[202:203], v[140:143]// 0000000054E0: D3D7008C 0E33953A
	v_mfma_i32_16x16x32_i8 v[140:143], a[60:61], v[204:205], v[140:143]// 0000000054E8: D3D7008C 0E33993C
	buffer_load_dword v31, s[20:23], 0 offen lds               // 0000000054F0: E0511000 8005001F
	s_add_u32 m0, 0, s50                                       // 0000000054F8: 807C3280
	ds_read_b128 v[172:175], v2 offset:1216                    // 0000000054FC: D9FE04C0 AC000002
	v_mfma_i32_16x16x32_i8 v[140:143], a[62:63], v[206:207], v[140:143]// 000000005504: D3D7008C 0E339D3E
	s_add_u32 s60, 0x300, s80                                  // 00000000550C: 803C50FF 00000300
	s_cmp_lt_u32 s60, s81                                      // 000000005514: BF0A513C
	s_cselect_b32 s57, s57, 0                                  // 000000005518: 85398039
	s_add_u32 s60, 0x200, s80                                  // 00000000551C: 803C50FF 00000200
	s_cmp_lt_u32 s60, s81                                      // 000000005524: BF0A513C
	s_cselect_b32 s58, s58, 0                                  // 000000005528: 853A803A
	s_add_u32 s20, s57, s20                                    // 00000000552C: 80141439
	s_addc_u32 s21, 0, s21                                     // 000000005530: 82151580
	s_add_u32 s24, s58, s24                                    // 000000005534: 8018183A
	s_addc_u32 s25, 0, s25                                     // 000000005538: 82191980
	s_addk_i32 s80, 0x100                                      // 00000000553C: B7500100
	s_cmp_lt_i32 s80, s81                                      // 000000005540: BF045150
	s_cbranch_scc0 label_09D3                                  // 000000005544: BF840001
	s_branch label_08B2                                        // 000000005548: BF82FEDF

000000000000554c <label_09D3>:
	s_mov_b32 s36, -1                                          // 00000000554C: BEA400C1
	s_mov_b32 s37, -1                                          // 000000005550: BEA500C1
	s_mov_b64 s[60:61], 0                                      // 000000005554: BEBC0180
	s_cmp_lt_u32 s82, s66                                      // 000000005558: BF0A4252
	s_cselect_b64 s[20:21], s[36:37], s[60:61]                 // 00000000555C: 85943C24
	s_cmp_lt_u32 s83, s66                                      // 000000005560: BF0A4253
	s_cselect_b64 s[22:23], s[36:37], s[60:61]                 // 000000005564: 85963C24
	s_cmp_lt_u32 s84, s66                                      // 000000005568: BF0A4254
	s_cselect_b64 s[24:25], s[36:37], s[60:61]                 // 00000000556C: 85983C24
	s_cmp_lt_u32 s85, s66                                      // 000000005570: BF0A4255
	s_cselect_b64 s[26:27], s[36:37], s[60:61]                 // 000000005574: 859A3C24
	s_cmp_lt_u32 s86, s66                                      // 000000005578: BF0A4256
	s_cselect_b64 s[28:29], s[36:37], s[60:61]                 // 00000000557C: 859C3C24
	s_cmp_lt_u32 s87, s66                                      // 000000005580: BF0A4257
	s_cselect_b64 s[30:31], s[36:37], s[60:61]                 // 000000005584: 859E3C24
	s_cmp_lt_u32 s88, s66                                      // 000000005588: BF0A4258
	s_cselect_b64 s[32:33], s[36:37], s[60:61]                 // 00000000558C: 85A03C24
	s_cmp_lt_u32 s89, s66                                      // 000000005590: BF0A4259
	s_cselect_b64 s[34:35], s[36:37], s[60:61]                 // 000000005594: 85A23C24
	v_cvt_f32_i32_e32 v128, v128                               // 000000005598: 7F000B80
	v_cvt_f32_i32_e32 v129, v129                               // 00000000559C: 7F020B81
	v_cvt_f32_i32_e32 v130, v130                               // 0000000055A0: 7F040B82
	v_cvt_f32_i32_e32 v131, v131                               // 0000000055A4: 7F060B83
	v_mul_f32_e32 v128, v13, v128                              // 0000000055A8: 0B01010D
	v_mul_f32_e32 v129, v13, v129                              // 0000000055AC: 0B03030D
	v_mul_f32_e32 v130, v13, v130                              // 0000000055B0: 0B05050D
	v_mul_f32_e32 v131, v13, v131                              // 0000000055B4: 0B07070D
	v_mul_f32_dpp v128, v15, v128 row_newbcast:0 row_mask:0xf bank_mask:0xf// 0000000055B8: 0B0100FA FF01500F
	v_mul_f32_dpp v129, v15, v129 row_newbcast:1 row_mask:0xf bank_mask:0xf// 0000000055C0: 0B0302FA FF01510F
	v_mul_f32_dpp v130, v15, v130 row_newbcast:2 row_mask:0xf bank_mask:0xf// 0000000055C8: 0B0504FA FF01520F
	v_mul_f32_dpp v131, v15, v131 row_newbcast:3 row_mask:0xf bank_mask:0xf// 0000000055D0: 0B0706FA FF01530F
	v_cvt_f32_i32_e32 v132, v132                               // 0000000055D8: 7F080B84
	v_cvt_f32_i32_e32 v133, v133                               // 0000000055DC: 7F0A0B85
	v_cvt_f32_i32_e32 v134, v134                               // 0000000055E0: 7F0C0B86
	v_cvt_f32_i32_e32 v135, v135                               // 0000000055E4: 7F0E0B87
	v_mul_f32_e32 v132, v14, v132                              // 0000000055E8: 0B09090E
	v_mul_f32_e32 v133, v14, v133                              // 0000000055EC: 0B0B0B0E
	v_mul_f32_e32 v134, v14, v134                              // 0000000055F0: 0B0D0D0E
	v_mul_f32_e32 v135, v14, v135                              // 0000000055F4: 0B0F0F0E
	v_mul_f32_dpp v132, v15, v132 row_newbcast:0 row_mask:0xf bank_mask:0xf// 0000000055F8: 0B0908FA FF01500F
	v_mul_f32_dpp v133, v15, v133 row_newbcast:1 row_mask:0xf bank_mask:0xf// 000000005600: 0B0B0AFA FF01510F
	v_mul_f32_dpp v134, v15, v134 row_newbcast:2 row_mask:0xf bank_mask:0xf// 000000005608: 0B0D0CFA FF01520F
	v_mul_f32_dpp v135, v15, v135 row_newbcast:3 row_mask:0xf bank_mask:0xf// 000000005610: 0B0F0EFA FF01530F
	v_cvt_f32_i32_e32 v136, v136                               // 000000005618: 7F100B88
	v_cvt_f32_i32_e32 v137, v137                               // 00000000561C: 7F120B89
	v_cvt_f32_i32_e32 v138, v138                               // 000000005620: 7F140B8A
	v_cvt_f32_i32_e32 v139, v139                               // 000000005624: 7F160B8B
	v_mul_f32_e32 v136, v13, v136                              // 000000005628: 0B11110D
	v_mul_f32_e32 v137, v13, v137                              // 00000000562C: 0B13130D
	v_mul_f32_e32 v138, v13, v138                              // 000000005630: 0B15150D
	v_mul_f32_e32 v139, v13, v139                              // 000000005634: 0B17170D
	v_mul_f32_dpp v136, v15, v136 row_newbcast:4 row_mask:0xf bank_mask:0xf// 000000005638: 0B1110FA FF01540F
	v_mul_f32_dpp v137, v15, v137 row_newbcast:5 row_mask:0xf bank_mask:0xf// 000000005640: 0B1312FA FF01550F
	v_mul_f32_dpp v138, v15, v138 row_newbcast:6 row_mask:0xf bank_mask:0xf// 000000005648: 0B1514FA FF01560F
	v_mul_f32_dpp v139, v15, v139 row_newbcast:7 row_mask:0xf bank_mask:0xf// 000000005650: 0B1716FA FF01570F
	v_cvt_f32_i32_e32 v140, v140                               // 000000005658: 7F180B8C
	v_cvt_f32_i32_e32 v141, v141                               // 00000000565C: 7F1A0B8D
	v_cvt_f32_i32_e32 v142, v142                               // 000000005660: 7F1C0B8E
	v_cvt_f32_i32_e32 v143, v143                               // 000000005664: 7F1E0B8F
	v_mul_f32_e32 v140, v14, v140                              // 000000005668: 0B19190E
	v_mul_f32_e32 v141, v14, v141                              // 00000000566C: 0B1B1B0E
	v_mul_f32_e32 v142, v14, v142                              // 000000005670: 0B1D1D0E
	v_mul_f32_e32 v143, v14, v143                              // 000000005674: 0B1F1F0E
	v_mul_f32_dpp v140, v15, v140 row_newbcast:4 row_mask:0xf bank_mask:0xf// 000000005678: 0B1918FA FF01540F
	v_mul_f32_dpp v141, v15, v141 row_newbcast:5 row_mask:0xf bank_mask:0xf// 000000005680: 0B1B1AFA FF01550F
	v_mul_f32_dpp v142, v15, v142 row_newbcast:6 row_mask:0xf bank_mask:0xf// 000000005688: 0B1D1CFA FF01560F
	v_mul_f32_dpp v143, v15, v143 row_newbcast:7 row_mask:0xf bank_mask:0xf// 000000005690: 0B1F1EFA FF01570F
	s_waitcnt vmcnt(4)                                         // 000000005698: BF8C0F74
	buffer_load_dwordx4 a[0:3], v34, s[12:15], 0 offen         // 00000000569C: E05C1000 80830022
	v_mul_f32_e64 v42, -v128, s6                               // 0000000056A4: D105002A 20000D80
	v_mul_f32_e64 v43, -v129, s6                               // 0000000056AC: D105002B 20000D81
	v_mul_f32_e64 v44, -v130, s6                               // 0000000056B4: D105002C 20000D82
	v_mul_f32_e64 v45, -v131, s6                               // 0000000056BC: D105002D 20000D83
	v_exp_f32_e32 v42, v42                                     // 0000000056C4: 7E54412A
	v_exp_f32_e32 v43, v43                                     // 0000000056C8: 7E56412B
	v_exp_f32_e32 v44, v44                                     // 0000000056CC: 7E58412C
	v_exp_f32_e32 v45, v45                                     // 0000000056D0: 7E5A412D
	buffer_load_dwordx4 a[4:7], v35, s[12:15], 0 offen         // 0000000056D4: E05C1000 80830423
	v_add_f32_e64 v42, v42, 1.0                                // 0000000056DC: D101002A 0001E52A
	v_add_f32_e64 v43, v43, 1.0                                // 0000000056E4: D101002B 0001E52B
	v_add_f32_e64 v44, v44, 1.0                                // 0000000056EC: D101002C 0001E52C
	v_add_f32_e64 v45, v45, 1.0                                // 0000000056F4: D101002D 0001E52D
	v_rcp_f32_e32 v42, v42                                     // 0000000056FC: 7E54452A
	v_rcp_f32_e32 v43, v43                                     // 000000005700: 7E56452B
	v_rcp_f32_e32 v44, v44                                     // 000000005704: 7E58452C
	v_rcp_f32_e32 v45, v45                                     // 000000005708: 7E5A452D
	v_mul_f32_e32 v128, v128, v42                              // 00000000570C: 0B005580
	v_mul_f32_e32 v129, v129, v43                              // 000000005710: 0B025781
	v_mul_f32_e32 v130, v130, v44                              // 000000005714: 0B045982
	v_mul_f32_e32 v131, v131, v45                              // 000000005718: 0B065B83
	buffer_load_dwordx4 a[8:11], v36, s[12:15], 0 offen        // 00000000571C: E05C1000 80830824
	v_mul_f32_e64 v42, -v132, s6                               // 000000005724: D105002A 20000D84
	v_mul_f32_e64 v43, -v133, s6                               // 00000000572C: D105002B 20000D85
	v_mul_f32_e64 v44, -v134, s6                               // 000000005734: D105002C 20000D86
	v_mul_f32_e64 v45, -v135, s6                               // 00000000573C: D105002D 20000D87
	v_exp_f32_e32 v42, v42                                     // 000000005744: 7E54412A
	v_exp_f32_e32 v43, v43                                     // 000000005748: 7E56412B
	v_exp_f32_e32 v44, v44                                     // 00000000574C: 7E58412C
	v_exp_f32_e32 v45, v45                                     // 000000005750: 7E5A412D
	buffer_load_dwordx4 a[12:15], v37, s[12:15], 0 offen       // 000000005754: E05C1000 80830C25
	s_add_u32 s12, s78, s12                                    // 00000000575C: 800C0C4E
	s_addc_u32 s13, 0, s13                                     // 000000005760: 820D0D80
	v_add_f32_e64 v42, v42, 1.0                                // 000000005764: D101002A 0001E52A
	v_add_f32_e64 v43, v43, 1.0                                // 00000000576C: D101002B 0001E52B
	v_add_f32_e64 v44, v44, 1.0                                // 000000005774: D101002C 0001E52C
	v_add_f32_e64 v45, v45, 1.0                                // 00000000577C: D101002D 0001E52D
	v_rcp_f32_e32 v42, v42                                     // 000000005784: 7E54452A
	v_rcp_f32_e32 v43, v43                                     // 000000005788: 7E56452B
	v_rcp_f32_e32 v44, v44                                     // 00000000578C: 7E58452C
	v_rcp_f32_e32 v45, v45                                     // 000000005790: 7E5A452D
	v_mul_f32_e32 v132, v132, v42                              // 000000005794: 0B085584
	v_mul_f32_e32 v133, v133, v43                              // 000000005798: 0B0A5785
	v_mul_f32_e32 v134, v134, v44                              // 00000000579C: 0B0C5986
	v_mul_f32_e32 v135, v135, v45                              // 0000000057A0: 0B0E5B87
	s_waitcnt vmcnt(4)                                         // 0000000057A4: BF8C0F74
	buffer_load_dwordx4 a[16:19], v34, s[12:15], 0 offen       // 0000000057A8: E05C1000 80831022
	v_mul_f32_e64 v42, -v136, s6                               // 0000000057B0: D105002A 20000D88
	v_mul_f32_e64 v43, -v137, s6                               // 0000000057B8: D105002B 20000D89
	v_mul_f32_e64 v44, -v138, s6                               // 0000000057C0: D105002C 20000D8A
	v_mul_f32_e64 v45, -v139, s6                               // 0000000057C8: D105002D 20000D8B
	v_exp_f32_e32 v42, v42                                     // 0000000057D0: 7E54412A
	v_exp_f32_e32 v43, v43                                     // 0000000057D4: 7E56412B
	v_exp_f32_e32 v44, v44                                     // 0000000057D8: 7E58412C
	v_exp_f32_e32 v45, v45                                     // 0000000057DC: 7E5A412D
	buffer_load_dwordx4 a[20:23], v35, s[12:15], 0 offen       // 0000000057E0: E05C1000 80831423
	v_add_f32_e64 v42, v42, 1.0                                // 0000000057E8: D101002A 0001E52A
	v_add_f32_e64 v43, v43, 1.0                                // 0000000057F0: D101002B 0001E52B
	v_add_f32_e64 v44, v44, 1.0                                // 0000000057F8: D101002C 0001E52C
	v_add_f32_e64 v45, v45, 1.0                                // 000000005800: D101002D 0001E52D
	v_rcp_f32_e32 v42, v42                                     // 000000005808: 7E54452A
	v_rcp_f32_e32 v43, v43                                     // 00000000580C: 7E56452B
	v_rcp_f32_e32 v44, v44                                     // 000000005810: 7E58452C
	v_rcp_f32_e32 v45, v45                                     // 000000005814: 7E5A452D
	v_mul_f32_e32 v136, v136, v42                              // 000000005818: 0B105588
	v_mul_f32_e32 v137, v137, v43                              // 00000000581C: 0B125789
	v_mul_f32_e32 v138, v138, v44                              // 000000005820: 0B14598A
	v_mul_f32_e32 v139, v139, v45                              // 000000005824: 0B165B8B
	buffer_load_dwordx4 a[24:27], v36, s[12:15], 0 offen       // 000000005828: E05C1000 80831824
	v_mul_f32_e64 v42, -v140, s6                               // 000000005830: D105002A 20000D8C
	v_mul_f32_e64 v43, -v141, s6                               // 000000005838: D105002B 20000D8D
	v_mul_f32_e64 v44, -v142, s6                               // 000000005840: D105002C 20000D8E
	v_mul_f32_e64 v45, -v143, s6                               // 000000005848: D105002D 20000D8F
	v_exp_f32_e32 v42, v42                                     // 000000005850: 7E54412A
	v_exp_f32_e32 v43, v43                                     // 000000005854: 7E56412B
	v_exp_f32_e32 v44, v44                                     // 000000005858: 7E58412C
	v_exp_f32_e32 v45, v45                                     // 00000000585C: 7E5A412D
	buffer_load_dwordx4 a[28:31], v37, s[12:15], 0 offen       // 000000005860: E05C1000 80831C25
	v_add_f32_e64 v42, v42, 1.0                                // 000000005868: D101002A 0001E52A
	v_add_f32_e64 v43, v43, 1.0                                // 000000005870: D101002B 0001E52B
	v_add_f32_e64 v44, v44, 1.0                                // 000000005878: D101002C 0001E52C
	v_add_f32_e64 v45, v45, 1.0                                // 000000005880: D101002D 0001E52D
	v_rcp_f32_e32 v42, v42                                     // 000000005888: 7E54452A
	v_rcp_f32_e32 v43, v43                                     // 00000000588C: 7E56452B
	v_rcp_f32_e32 v44, v44                                     // 000000005890: 7E58452C
	v_rcp_f32_e32 v45, v45                                     // 000000005894: 7E5A452D
	v_mul_f32_e32 v140, v140, v42                              // 000000005898: 0B18558C
	v_mul_f32_e32 v141, v141, v43                              // 00000000589C: 0B1A578D
	v_mul_f32_e32 v142, v142, v44                              // 0000000058A0: 0B1C598E
	v_mul_f32_e32 v143, v143, v45                              // 0000000058A4: 0B1E5B8F
	v_mul_f32_dpp v128, v16, v128 row_newbcast:0 row_mask:0xf bank_mask:0xf// 0000000058A8: 0B0100FA FF015010
	v_mul_f32_dpp v129, v16, v129 row_newbcast:1 row_mask:0xf bank_mask:0xf// 0000000058B0: 0B0302FA FF015110
	v_mul_f32_dpp v130, v16, v130 row_newbcast:2 row_mask:0xf bank_mask:0xf// 0000000058B8: 0B0504FA FF015210
	v_mul_f32_dpp v131, v16, v131 row_newbcast:3 row_mask:0xf bank_mask:0xf// 0000000058C0: 0B0706FA FF015310
	v_mul_f32_dpp v132, v16, v132 row_newbcast:0 row_mask:0xf bank_mask:0xf// 0000000058C8: 0B0908FA FF015010
	v_mul_f32_dpp v133, v16, v133 row_newbcast:1 row_mask:0xf bank_mask:0xf// 0000000058D0: 0B0B0AFA FF015110
	v_mul_f32_dpp v134, v16, v134 row_newbcast:2 row_mask:0xf bank_mask:0xf// 0000000058D8: 0B0D0CFA FF015210
	v_mul_f32_dpp v135, v16, v135 row_newbcast:3 row_mask:0xf bank_mask:0xf// 0000000058E0: 0B0F0EFA FF015310
	v_mul_f32_dpp v136, v16, v136 row_newbcast:4 row_mask:0xf bank_mask:0xf// 0000000058E8: 0B1110FA FF015410
	v_mul_f32_dpp v137, v16, v137 row_newbcast:5 row_mask:0xf bank_mask:0xf// 0000000058F0: 0B1312FA FF015510
	v_mul_f32_dpp v138, v16, v138 row_newbcast:6 row_mask:0xf bank_mask:0xf// 0000000058F8: 0B1514FA FF015610
	v_mul_f32_dpp v139, v16, v139 row_newbcast:7 row_mask:0xf bank_mask:0xf// 000000005900: 0B1716FA FF015710
	v_mul_f32_dpp v140, v16, v140 row_newbcast:4 row_mask:0xf bank_mask:0xf// 000000005908: 0B1918FA FF015410
	v_mul_f32_dpp v141, v16, v141 row_newbcast:5 row_mask:0xf bank_mask:0xf// 000000005910: 0B1B1AFA FF015510
	v_mul_f32_dpp v142, v16, v142 row_newbcast:6 row_mask:0xf bank_mask:0xf// 000000005918: 0B1D1CFA FF015610
	v_mul_f32_dpp v143, v16, v143 row_newbcast:7 row_mask:0xf bank_mask:0xf// 000000005920: 0B1F1EFA FF015710
	buffer_load_dword v11, v5, s[16:19], 0 offen               // 000000005928: E0501000 80040B05
	v_mov_b32_e32 v20, 0x358637bd                              // 000000005930: 7E2802FF 358637BD
	v_mov_b32_e32 v21, 0x358637bd                              // 000000005938: 7E2A02FF 358637BD
	v_max3_f32 v20, |v128|, |v129|, v20                        // 000000005940: D1D30314 04530380
	v_max3_f32 v20, |v130|, |v131|, v20                        // 000000005948: D1D30314 04530782
	v_max3_f32 v21, |v132|, |v133|, v21                        // 000000005950: D1D30315 04570B84
	v_max3_f32 v21, |v134|, |v135|, v21                        // 000000005958: D1D30315 04570F86
	v_max3_f32 v20, |v136|, |v137|, v20                        // 000000005960: D1D30314 04531388
	v_max3_f32 v20, |v138|, |v139|, v20                        // 000000005968: D1D30314 0453178A
	v_max3_f32 v21, |v140|, |v141|, v21                        // 000000005970: D1D30315 04571B8C
	v_max3_f32 v21, |v142|, |v143|, v21                        // 000000005978: D1D30315 04571F8E
	v_lshlrev_b32_e32 v42, 3, v0                               // 000000005980: 24540083
	s_mul_i32 s60, 0x200, s7                                   // 000000005984: 923C07FF 00000200
	v_add_u32_e32 v42, s60, v42                                // 00000000598C: 6854543C
	ds_write_b64 v42, v[20:21] offset:16640                    // 000000005990: D89A4100 0000142A
	s_waitcnt lgkmcnt(0)                                       // 000000005998: BF8CC07F
	s_barrier                                                  // 00000000599C: BF8A0000
	v_and_b32_e32 v42, 15, v0                                  // 0000000059A0: 2654008F
	v_lshlrev_b32_e32 v42, 3, v42                              // 0000000059A4: 24545483
	ds_read_b64 v[96:97], v42 offset:16640                     // 0000000059A8: D8EC4100 6000002A
	ds_read_b64 v[98:99], v42 offset:16768                     // 0000000059B0: D8EC4180 6200002A
	ds_read_b64 v[100:101], v42 offset:16896                   // 0000000059B8: D8EC4200 6400002A
	ds_read_b64 v[102:103], v42 offset:17024                   // 0000000059C0: D8EC4280 6600002A
	ds_read_b64 v[104:105], v42 offset:17152                   // 0000000059C8: D8EC4300 6800002A
	ds_read_b64 v[106:107], v42 offset:17280                   // 0000000059D0: D8EC4380 6A00002A
	ds_read_b64 v[108:109], v42 offset:17408                   // 0000000059D8: D8EC4400 6C00002A
	ds_read_b64 v[110:111], v42 offset:17536                   // 0000000059E0: D8EC4480 6E00002A
	ds_read_b64 v[112:113], v42 offset:17664                   // 0000000059E8: D8EC4500 7000002A
	ds_read_b64 v[114:115], v42 offset:17792                   // 0000000059F0: D8EC4580 7200002A
	ds_read_b64 v[116:117], v42 offset:17920                   // 0000000059F8: D8EC4600 7400002A
	ds_read_b64 v[118:119], v42 offset:18048                   // 000000005A00: D8EC4680 7600002A
	ds_read_b64 v[120:121], v42 offset:18176                   // 000000005A08: D8EC4700 7800002A
	ds_read_b64 v[122:123], v42 offset:18304                   // 000000005A10: D8EC4780 7A00002A
	ds_read_b64 v[124:125], v42 offset:18432                   // 000000005A18: D8EC4800 7C00002A
	ds_read_b64 v[126:127], v42 offset:18560                   // 000000005A20: D8EC4880 7E00002A
	s_waitcnt lgkmcnt(0)                                       // 000000005A28: BF8CC07F
	v_max3_f32 v20, |v96|, |v98|, v20                          // 000000005A2C: D1D30314 0452C560
	v_max3_f32 v21, |v97|, |v99|, v21                          // 000000005A34: D1D30315 0456C761
	v_max3_f32 v20, |v100|, |v102|, v20                        // 000000005A3C: D1D30314 0452CD64
	v_max3_f32 v21, |v101|, |v103|, v21                        // 000000005A44: D1D30315 0456CF65
	v_max3_f32 v20, |v104|, |v106|, v20                        // 000000005A4C: D1D30314 0452D568
	v_max3_f32 v21, |v105|, |v107|, v21                        // 000000005A54: D1D30315 0456D769
	v_max3_f32 v20, |v108|, |v110|, v20                        // 000000005A5C: D1D30314 0452DD6C
	v_max3_f32 v21, |v109|, |v111|, v21                        // 000000005A64: D1D30315 0456DF6D
	v_max3_f32 v20, |v112|, |v114|, v20                        // 000000005A6C: D1D30314 0452E570
	v_max3_f32 v21, |v113|, |v115|, v21                        // 000000005A74: D1D30315 0456E771
	v_max3_f32 v20, |v116|, |v118|, v20                        // 000000005A7C: D1D30314 0452ED74
	v_max3_f32 v21, |v117|, |v119|, v21                        // 000000005A84: D1D30315 0456EF75
	v_max3_f32 v20, |v120|, |v122|, v20                        // 000000005A8C: D1D30314 0452F578
	v_max3_f32 v21, |v121|, |v123|, v21                        // 000000005A94: D1D30315 0456F779
	v_max3_f32 v20, |v124|, |v126|, v20                        // 000000005A9C: D1D30314 0452FD7C
	v_max3_f32 v21, |v125|, |v127|, v21                        // 000000005AA4: D1D30315 0456FF7D
	v_rcp_f32_e32 v20, v20                                     // 000000005AAC: 7E284514
	v_rcp_f32_e32 v21, v21                                     // 000000005AB0: 7E2A4515
	v_mul_f32_e32 v20, 0x42fe0000, v20                         // 000000005AB4: 0A2828FF 42FE0000
	v_mul_f32_e32 v21, 0x42fe0000, v21                         // 000000005ABC: 0A2A2AFF 42FE0000
	v_mul_f32_e32 v128, v20, v128                              // 000000005AC4: 0B010114
	v_mul_f32_e32 v129, v20, v129                              // 000000005AC8: 0B030314
	v_mul_f32_e32 v130, v20, v130                              // 000000005ACC: 0B050514
	v_mul_f32_e32 v131, v20, v131                              // 000000005AD0: 0B070714
	v_cvt_i32_f32_e32 v128, v128                               // 000000005AD4: 7F001180
	v_cvt_i32_f32_e32 v129, v129                               // 000000005AD8: 7F021181
	v_cvt_i32_f32_e32 v130, v130                               // 000000005ADC: 7F041182
	v_cvt_i32_f32_e32 v131, v131                               // 000000005AE0: 7F061183
	v_perm_b32 v128, v129, v128, s53                           // 000000005AE4: D1ED0080 00D70181
	v_perm_b32 v128, v130, v128, s54                           // 000000005AEC: D1ED0080 00DB0182
	v_perm_b32 v128, v131, v128, s55                           // 000000005AF4: D1ED0080 00DF0183
	v_mul_f32_e32 v132, v21, v132                              // 000000005AFC: 0B090915
	v_mul_f32_e32 v133, v21, v133                              // 000000005B00: 0B0B0B15
	v_mul_f32_e32 v134, v21, v134                              // 000000005B04: 0B0D0D15
	v_mul_f32_e32 v135, v21, v135                              // 000000005B08: 0B0F0F15
	v_cvt_i32_f32_e32 v132, v132                               // 000000005B0C: 7F081184
	v_cvt_i32_f32_e32 v133, v133                               // 000000005B10: 7F0A1185
	v_cvt_i32_f32_e32 v134, v134                               // 000000005B14: 7F0C1186
	v_cvt_i32_f32_e32 v135, v135                               // 000000005B18: 7F0E1187
	v_perm_b32 v129, v133, v132, s53                           // 000000005B1C: D1ED0081 00D70985
	v_perm_b32 v129, v134, v129, s54                           // 000000005B24: D1ED0081 00DB0386
	v_perm_b32 v129, v135, v129, s55                           // 000000005B2C: D1ED0081 00DF0387
	v_mul_f32_e32 v136, v20, v136                              // 000000005B34: 0B111114
	v_mul_f32_e32 v137, v20, v137                              // 000000005B38: 0B131314
	v_mul_f32_e32 v138, v20, v138                              // 000000005B3C: 0B151514
	v_mul_f32_e32 v139, v20, v139                              // 000000005B40: 0B171714
	v_cvt_i32_f32_e32 v136, v136                               // 000000005B44: 7F101188
	v_cvt_i32_f32_e32 v137, v137                               // 000000005B48: 7F121189
	v_cvt_i32_f32_e32 v138, v138                               // 000000005B4C: 7F14118A
	v_cvt_i32_f32_e32 v139, v139                               // 000000005B50: 7F16118B
	v_perm_b32 v130, v137, v136, s53                           // 000000005B54: D1ED0082 00D71189
	v_perm_b32 v130, v138, v130, s54                           // 000000005B5C: D1ED0082 00DB058A
	v_perm_b32 v130, v139, v130, s55                           // 000000005B64: D1ED0082 00DF058B
	v_mul_f32_e32 v140, v21, v140                              // 000000005B6C: 0B191915
	v_mul_f32_e32 v141, v21, v141                              // 000000005B70: 0B1B1B15
	v_mul_f32_e32 v142, v21, v142                              // 000000005B74: 0B1D1D15
	v_mul_f32_e32 v143, v21, v143                              // 000000005B78: 0B1F1F15
	v_cvt_i32_f32_e32 v140, v140                               // 000000005B7C: 7F18118C
	v_cvt_i32_f32_e32 v141, v141                               // 000000005B80: 7F1A118D
	v_cvt_i32_f32_e32 v142, v142                               // 000000005B84: 7F1C118E
	v_cvt_i32_f32_e32 v143, v143                               // 000000005B88: 7F1E118F
	v_perm_b32 v131, v141, v140, s53                           // 000000005B8C: D1ED0083 00D7198D
	v_perm_b32 v131, v142, v131, s54                           // 000000005B94: D1ED0083 00DB078E
	v_perm_b32 v131, v143, v131, s55                           // 000000005B9C: D1ED0083 00DF078F
	v_rcp_f32_e32 v22, v20                                     // 000000005BA4: 7E2C4514
	v_rcp_f32_e32 v23, v21                                     // 000000005BA8: 7E2E4515
	v_lshrrev_b32_e32 v42, 5, v0                               // 000000005BAC: 20540085
	v_lshlrev_b32_e32 v43, 5, v42                              // 000000005BB0: 24565485
	v_and_b32_e32 v42, 31, v0                                  // 000000005BB4: 2654009F
	v_lshrrev_b32_e32 v44, 4, v42                              // 000000005BB8: 20585484
	v_add_u32_e32 v43, v44, v43                                // 000000005BBC: 6856572C
	v_and_b32_e32 v42, 15, v0                                  // 000000005BC0: 2654008F
	v_lshlrev_b32_e32 v42, 1, v42                              // 000000005BC4: 24545481
	v_add_u32_e32 v43, v42, v43                                // 000000005BC8: 6856572A
	v_lshlrev_b32_e32 v42, 2, v43                              // 000000005BCC: 24545682
	s_mul_i32 s60, 0x100, s7                                   // 000000005BD0: 923C07FF 00000100
	v_add_u32_e64 v42, v42, s60                                // 000000005BD8: D134002A 0000792A
	ds_write_b32 v42, v128 offset:18688                        // 000000005BE0: D81A4900 0000802A
	ds_write_b32 v42, v129 offset:20736                        // 000000005BE8: D81A5100 0000812A
	ds_write_b32 v42, v130 offset:19712                        // 000000005BF0: D81A4D00 0000822A
	ds_write_b32 v42, v131 offset:21760                        // 000000005BF8: D81A5500 0000832A
	s_waitcnt lgkmcnt(0)                                       // 000000005C00: BF8CC07F
	s_barrier                                                  // 000000005C04: BF8A0000
	v_lshrrev_b32_e32 v42, 4, v0                               // 000000005C08: 20540084
	v_lshlrev_b32_e32 v43, 6, v42                              // 000000005C0C: 24565486
	v_and_b32_e32 v42, 15, v0                                  // 000000005C10: 2654008F
	v_lshlrev_b32_e32 v42, 1, v42                              // 000000005C14: 24545481
	v_add_u32_e32 v43, v42, v43                                // 000000005C18: 6856572A
	v_lshlrev_b32_e32 v42, 2, v43                              // 000000005C1C: 24545682
	ds_read_b64 v[128:129], v42 offset:18688                   // 000000005C20: D8EC4900 8000002A
	ds_read_b64 v[130:131], v42 offset:18816                   // 000000005C28: D8EC4980 8200002A
	ds_read_b64 v[132:133], v42 offset:19712                   // 000000005C30: D8EC4D00 8400002A
	ds_read_b64 v[134:135], v42 offset:19840                   // 000000005C38: D8EC4D80 8600002A
	ds_read_b64 v[136:137], v42 offset:20736                   // 000000005C40: D8EC5100 8800002A
	ds_read_b64 v[138:139], v42 offset:20864                   // 000000005C48: D8EC5180 8A00002A
	ds_read_b64 v[140:141], v42 offset:21760                   // 000000005C50: D8EC5500 8C00002A
	ds_read_b64 v[142:143], v42 offset:21888                   // 000000005C58: D8EC5580 8E00002A
	s_add_u32 s12, s56, s12                                    // 000000005C60: 800C0C38
	s_addc_u32 s13, 0, s13                                     // 000000005C64: 820D0D80
	s_add_u32 s16, s79, s16                                    // 000000005C68: 8010104F
	s_addc_u32 s17, 0, s17                                     // 000000005C6C: 82111180
	s_mov_b32 s80, 0                                           // 000000005C70: BED00080
	s_waitcnt vmcnt(0) expcnt(0) lgkmcnt(0)                    // 000000005C74: BF8C0000

0000000000005c78 <label_0B9E>:
	s_waitcnt vmcnt(21)                                        // 000000005C78: BF8C4F75
	s_barrier                                                  // 000000005C7C: BF8A0000
	v_mfma_i32_16x16x32_i8 v[144:147], a[0:1], v[128:129], 0   // 000000005C80: D3D70090 0A030100
	buffer_load_dwordx4 a[32:35], v34, s[12:15], 0 offen       // 000000005C88: E05C1000 80832022
	v_mfma_i32_16x16x32_i8 v[144:147], a[2:3], v[130:131], v[144:147]// 000000005C90: D3D70090 0E430502
	v_mfma_i32_16x16x32_i8 v[148:151], a[0:1], v[136:137], 0   // 000000005C98: D3D70094 0A031100
	v_mfma_i32_16x16x32_i8 v[148:151], a[2:3], v[138:139], v[148:151]// 000000005CA0: D3D70094 0E531502
	v_mfma_i32_16x16x32_i8 v[152:155], a[4:5], v[128:129], 0   // 000000005CA8: D3D70098 0A030104
	buffer_load_dwordx4 a[36:39], v35, s[12:15], 0 offen       // 000000005CB0: E05C1000 80832423
	v_mfma_i32_16x16x32_i8 v[152:155], a[6:7], v[130:131], v[152:155]// 000000005CB8: D3D70098 0E630506
	v_mfma_i32_16x16x32_i8 v[156:159], a[4:5], v[136:137], 0   // 000000005CC0: D3D7009C 0A031104
	v_mfma_i32_16x16x32_i8 v[156:159], a[6:7], v[138:139], v[156:159]// 000000005CC8: D3D7009C 0E731506
	v_mfma_i32_16x16x32_i8 v[160:163], a[8:9], v[128:129], 0   // 000000005CD0: D3D700A0 0A030108
	buffer_load_dwordx4 a[40:43], v36, s[12:15], 0 offen       // 000000005CD8: E05C1000 80832824
	v_mfma_i32_16x16x32_i8 v[160:163], a[10:11], v[130:131], v[160:163]// 000000005CE0: D3D700A0 0E83050A
	v_mfma_i32_16x16x32_i8 v[164:167], a[8:9], v[136:137], 0   // 000000005CE8: D3D700A4 0A031108
	v_mfma_i32_16x16x32_i8 v[164:167], a[10:11], v[138:139], v[164:167]// 000000005CF0: D3D700A4 0E93150A
	v_mfma_i32_16x16x32_i8 v[168:171], a[12:13], v[128:129], 0 // 000000005CF8: D3D700A8 0A03010C
	buffer_load_dwordx4 a[44:47], v37, s[12:15], 0 offen       // 000000005D00: E05C1000 80832C25
	s_add_u32 s12, s78, s12                                    // 000000005D08: 800C0C4E
	s_addc_u32 s13, 0, s13                                     // 000000005D0C: 820D0D80
	v_mfma_i32_16x16x32_i8 v[168:171], a[14:15], v[130:131], v[168:171]// 000000005D10: D3D700A8 0EA3050E
	v_mfma_i32_16x16x32_i8 v[172:175], a[12:13], v[136:137], 0 // 000000005D18: D3D700AC 0A03110C
	v_mfma_i32_16x16x32_i8 v[172:175], a[14:15], v[138:139], v[172:175]// 000000005D20: D3D700AC 0EB3150E
	s_waitcnt vmcnt(20)                                        // 000000005D28: BF8C4F74
	v_mfma_i32_16x16x32_i8 v[144:147], a[16:17], v[132:133], v[144:147]// 000000005D2C: D3D70090 0E430910
	buffer_load_dwordx4 a[48:51], v34, s[12:15], 0 offen       // 000000005D34: E05C1000 80833022
	v_mfma_i32_16x16x32_i8 v[144:147], a[18:19], v[134:135], v[144:147]// 000000005D3C: D3D70090 0E430D12
	v_mfma_i32_16x16x32_i8 v[148:151], a[16:17], v[140:141], v[148:151]// 000000005D44: D3D70094 0E531910
	buffer_load_dword v12, v5, s[16:19], 0 offen               // 000000005D4C: E0501000 80040C05
	v_mfma_i32_16x16x32_i8 v[148:151], a[18:19], v[142:143], v[148:151]// 000000005D54: D3D70094 0E531D12
	v_mfma_i32_16x16x32_i8 v[152:155], a[20:21], v[132:133], v[152:155]// 000000005D5C: D3D70098 0E630914
	buffer_load_dwordx4 a[52:55], v35, s[12:15], 0 offen       // 000000005D64: E05C1000 80833423
	v_mfma_i32_16x16x32_i8 v[152:155], a[22:23], v[134:135], v[152:155]// 000000005D6C: D3D70098 0E630D16
	v_mfma_i32_16x16x32_i8 v[156:159], a[20:21], v[140:141], v[156:159]// 000000005D74: D3D7009C 0E731914
	v_mfma_i32_16x16x32_i8 v[156:159], a[22:23], v[142:143], v[156:159]// 000000005D7C: D3D7009C 0E731D16
	v_mfma_i32_16x16x32_i8 v[160:163], a[24:25], v[132:133], v[160:163]// 000000005D84: D3D700A0 0E830918
	buffer_load_dwordx4 a[56:59], v36, s[12:15], 0 offen       // 000000005D8C: E05C1000 80833824
	v_mfma_i32_16x16x32_i8 v[160:163], a[26:27], v[134:135], v[160:163]// 000000005D94: D3D700A0 0E830D1A
	v_mfma_i32_16x16x32_i8 v[164:167], a[24:25], v[140:141], v[164:167]// 000000005D9C: D3D700A4 0E931918
	v_mfma_i32_16x16x32_i8 v[164:167], a[26:27], v[142:143], v[164:167]// 000000005DA4: D3D700A4 0E931D1A
	v_mfma_i32_16x16x32_i8 v[168:171], a[28:29], v[132:133], v[168:171]// 000000005DAC: D3D700A8 0EA3091C
	buffer_load_dwordx4 a[60:63], v37, s[12:15], 0 offen       // 000000005DB4: E05C1000 80833C25
	v_mfma_i32_16x16x32_i8 v[168:171], a[30:31], v[134:135], v[168:171]// 000000005DBC: D3D700A8 0EA30D1E
	v_mfma_i32_16x16x32_i8 v[172:175], a[28:29], v[140:141], v[172:175]// 000000005DC4: D3D700AC 0EB3191C
	v_mfma_i32_16x16x32_i8 v[172:175], a[30:31], v[142:143], v[172:175]// 000000005DCC: D3D700AC 0EB31D1E
	s_add_u32 s60, 0x200, s80                                  // 000000005DD4: 803C50FF 00000200
	s_cmp_lt_u32 s60, s81                                      // 000000005DDC: BF0A513C
	s_cselect_b32 s56, s56, 0                                  // 000000005DE0: 85388038
	s_cselect_b32 s78, s78, 0                                  // 000000005DE4: 854E804E
	s_cselect_b32 s79, s79, 0                                  // 000000005DE8: 854F804F
	s_add_u32 s12, s56, s12                                    // 000000005DEC: 800C0C38
	s_addc_u32 s13, 0, s13                                     // 000000005DF0: 820D0D80
	s_add_u32 s16, s79, s16                                    // 000000005DF4: 8010104F
	s_addc_u32 s17, 0, s17                                     // 000000005DF8: 82111180
	v_cvt_f32_i32_e32 v144, v144                               // 000000005DFC: 7F200B90
	v_cvt_f32_i32_e32 v145, v145                               // 000000005E00: 7F220B91
	v_cvt_f32_i32_e32 v146, v146                               // 000000005E04: 7F240B92
	v_cvt_f32_i32_e32 v147, v147                               // 000000005E08: 7F260B93
	v_mul_f32_e32 v144, v22, v144                              // 000000005E0C: 0B212116
	v_mul_f32_e32 v145, v22, v145                              // 000000005E10: 0B232316
	v_mul_f32_e32 v146, v22, v146                              // 000000005E14: 0B252516
	v_mul_f32_e32 v147, v22, v147                              // 000000005E18: 0B272716
	v_mul_f32_dpp v144, v11, v144 row_newbcast:0 row_mask:0xf bank_mask:0xf// 000000005E1C: 0B2120FA FF01500B
	v_mul_f32_dpp v145, v11, v145 row_newbcast:1 row_mask:0xf bank_mask:0xf// 000000005E24: 0B2322FA FF01510B
	v_mul_f32_dpp v146, v11, v146 row_newbcast:2 row_mask:0xf bank_mask:0xf// 000000005E2C: 0B2524FA FF01520B
	v_mul_f32_dpp v147, v11, v147 row_newbcast:3 row_mask:0xf bank_mask:0xf// 000000005E34: 0B2726FA FF01530B
	v_mul_f32_e32 v144, v17, v144                              // 000000005E3C: 0B212111
	v_mul_f32_e32 v145, v17, v145                              // 000000005E40: 0B232311
	v_mul_f32_e32 v146, v17, v146                              // 000000005E44: 0B252511
	v_mul_f32_e32 v147, v17, v147                              // 000000005E48: 0B272711
	v_cvt_f32_i32_e32 v148, v148                               // 000000005E4C: 7F280B94
	v_cvt_f32_i32_e32 v149, v149                               // 000000005E50: 7F2A0B95
	v_cvt_f32_i32_e32 v150, v150                               // 000000005E54: 7F2C0B96
	v_cvt_f32_i32_e32 v151, v151                               // 000000005E58: 7F2E0B97
	v_mul_f32_e32 v148, v23, v148                              // 000000005E5C: 0B292917
	v_mul_f32_e32 v149, v23, v149                              // 000000005E60: 0B2B2B17
	v_mul_f32_e32 v150, v23, v150                              // 000000005E64: 0B2D2D17
	v_mul_f32_e32 v151, v23, v151                              // 000000005E68: 0B2F2F17
	v_mul_f32_dpp v148, v11, v148 row_newbcast:0 row_mask:0xf bank_mask:0xf// 000000005E6C: 0B2928FA FF01500B
	v_mul_f32_dpp v149, v11, v149 row_newbcast:1 row_mask:0xf bank_mask:0xf// 000000005E74: 0B2B2AFA FF01510B
	v_mul_f32_dpp v150, v11, v150 row_newbcast:2 row_mask:0xf bank_mask:0xf// 000000005E7C: 0B2D2CFA FF01520B
	v_mul_f32_dpp v151, v11, v151 row_newbcast:3 row_mask:0xf bank_mask:0xf// 000000005E84: 0B2F2EFA FF01530B
	v_mul_f32_e32 v148, v18, v148                              // 000000005E8C: 0B292912
	v_mul_f32_e32 v149, v18, v149                              // 000000005E90: 0B2B2B12
	v_mul_f32_e32 v150, v18, v150                              // 000000005E94: 0B2D2D12
	v_mul_f32_e32 v151, v18, v151                              // 000000005E98: 0B2F2F12
	v_cvt_f32_i32_e32 v152, v152                               // 000000005E9C: 7F300B98
	v_cvt_f32_i32_e32 v153, v153                               // 000000005EA0: 7F320B99
	v_cvt_f32_i32_e32 v154, v154                               // 000000005EA4: 7F340B9A
	v_cvt_f32_i32_e32 v155, v155                               // 000000005EA8: 7F360B9B
	v_mul_f32_e32 v152, v22, v152                              // 000000005EAC: 0B313116
	v_mul_f32_e32 v153, v22, v153                              // 000000005EB0: 0B333316
	v_mul_f32_e32 v154, v22, v154                              // 000000005EB4: 0B353516
	v_mul_f32_e32 v155, v22, v155                              // 000000005EB8: 0B373716
	v_mul_f32_dpp v152, v11, v152 row_newbcast:4 row_mask:0xf bank_mask:0xf// 000000005EBC: 0B3130FA FF01540B
	v_mul_f32_dpp v153, v11, v153 row_newbcast:5 row_mask:0xf bank_mask:0xf// 000000005EC4: 0B3332FA FF01550B
	v_mul_f32_dpp v154, v11, v154 row_newbcast:6 row_mask:0xf bank_mask:0xf// 000000005ECC: 0B3534FA FF01560B
	v_mul_f32_dpp v155, v11, v155 row_newbcast:7 row_mask:0xf bank_mask:0xf// 000000005ED4: 0B3736FA FF01570B
	v_mul_f32_e32 v152, v17, v152                              // 000000005EDC: 0B313111
	v_mul_f32_e32 v153, v17, v153                              // 000000005EE0: 0B333311
	v_mul_f32_e32 v154, v17, v154                              // 000000005EE4: 0B353511
	v_mul_f32_e32 v155, v17, v155                              // 000000005EE8: 0B373711
	v_cvt_f32_i32_e32 v156, v156                               // 000000005EEC: 7F380B9C
	v_cvt_f32_i32_e32 v157, v157                               // 000000005EF0: 7F3A0B9D
	v_cvt_f32_i32_e32 v158, v158                               // 000000005EF4: 7F3C0B9E
	v_cvt_f32_i32_e32 v159, v159                               // 000000005EF8: 7F3E0B9F
	v_mul_f32_e32 v156, v23, v156                              // 000000005EFC: 0B393917
	v_mul_f32_e32 v157, v23, v157                              // 000000005F00: 0B3B3B17
	v_mul_f32_e32 v158, v23, v158                              // 000000005F04: 0B3D3D17
	v_mul_f32_e32 v159, v23, v159                              // 000000005F08: 0B3F3F17
	v_mul_f32_dpp v156, v11, v156 row_newbcast:4 row_mask:0xf bank_mask:0xf// 000000005F0C: 0B3938FA FF01540B
	v_mul_f32_dpp v157, v11, v157 row_newbcast:5 row_mask:0xf bank_mask:0xf// 000000005F14: 0B3B3AFA FF01550B
	v_mul_f32_dpp v158, v11, v158 row_newbcast:6 row_mask:0xf bank_mask:0xf// 000000005F1C: 0B3D3CFA FF01560B
	v_mul_f32_dpp v159, v11, v159 row_newbcast:7 row_mask:0xf bank_mask:0xf// 000000005F24: 0B3F3EFA FF01570B
	v_mul_f32_e32 v156, v18, v156                              // 000000005F2C: 0B393912
	v_mul_f32_e32 v157, v18, v157                              // 000000005F30: 0B3B3B12
	v_mul_f32_e32 v158, v18, v158                              // 000000005F34: 0B3D3D12
	v_mul_f32_e32 v159, v18, v159                              // 000000005F38: 0B3F3F12
	v_cvt_f32_i32_e32 v160, v160                               // 000000005F3C: 7F400BA0
	v_cvt_f32_i32_e32 v161, v161                               // 000000005F40: 7F420BA1
	v_cvt_f32_i32_e32 v162, v162                               // 000000005F44: 7F440BA2
	v_cvt_f32_i32_e32 v163, v163                               // 000000005F48: 7F460BA3
	v_mul_f32_e32 v160, v22, v160                              // 000000005F4C: 0B414116
	v_mul_f32_e32 v161, v22, v161                              // 000000005F50: 0B434316
	v_mul_f32_e32 v162, v22, v162                              // 000000005F54: 0B454516
	v_mul_f32_e32 v163, v22, v163                              // 000000005F58: 0B474716
	v_mul_f32_dpp v160, v11, v160 row_newbcast:8 row_mask:0xf bank_mask:0xf// 000000005F5C: 0B4140FA FF01580B
	v_mul_f32_dpp v161, v11, v161 row_newbcast:9 row_mask:0xf bank_mask:0xf// 000000005F64: 0B4342FA FF01590B
	v_mul_f32_dpp v162, v11, v162 row_newbcast:10 row_mask:0xf bank_mask:0xf// 000000005F6C: 0B4544FA FF015A0B
	v_mul_f32_dpp v163, v11, v163 row_newbcast:11 row_mask:0xf bank_mask:0xf// 000000005F74: 0B4746FA FF015B0B
	v_mul_f32_e32 v160, v17, v160                              // 000000005F7C: 0B414111
	v_mul_f32_e32 v161, v17, v161                              // 000000005F80: 0B434311
	v_mul_f32_e32 v162, v17, v162                              // 000000005F84: 0B454511
	v_mul_f32_e32 v163, v17, v163                              // 000000005F88: 0B474711
	v_cvt_f32_i32_e32 v164, v164                               // 000000005F8C: 7F480BA4
	v_cvt_f32_i32_e32 v165, v165                               // 000000005F90: 7F4A0BA5
	v_cvt_f32_i32_e32 v166, v166                               // 000000005F94: 7F4C0BA6
	v_cvt_f32_i32_e32 v167, v167                               // 000000005F98: 7F4E0BA7
	v_mul_f32_e32 v164, v23, v164                              // 000000005F9C: 0B494917
	v_mul_f32_e32 v165, v23, v165                              // 000000005FA0: 0B4B4B17
	v_mul_f32_e32 v166, v23, v166                              // 000000005FA4: 0B4D4D17
	v_mul_f32_e32 v167, v23, v167                              // 000000005FA8: 0B4F4F17
	v_mul_f32_dpp v164, v11, v164 row_newbcast:8 row_mask:0xf bank_mask:0xf// 000000005FAC: 0B4948FA FF01580B
	v_mul_f32_dpp v165, v11, v165 row_newbcast:9 row_mask:0xf bank_mask:0xf// 000000005FB4: 0B4B4AFA FF01590B
	v_mul_f32_dpp v166, v11, v166 row_newbcast:10 row_mask:0xf bank_mask:0xf// 000000005FBC: 0B4D4CFA FF015A0B
	v_mul_f32_dpp v167, v11, v167 row_newbcast:11 row_mask:0xf bank_mask:0xf// 000000005FC4: 0B4F4EFA FF015B0B
	v_mul_f32_e32 v164, v18, v164                              // 000000005FCC: 0B494912
	v_mul_f32_e32 v165, v18, v165                              // 000000005FD0: 0B4B4B12
	v_mul_f32_e32 v166, v18, v166                              // 000000005FD4: 0B4D4D12
	v_mul_f32_e32 v167, v18, v167                              // 000000005FD8: 0B4F4F12
	v_cvt_f32_i32_e32 v168, v168                               // 000000005FDC: 7F500BA8
	v_cvt_f32_i32_e32 v169, v169                               // 000000005FE0: 7F520BA9
	v_cvt_f32_i32_e32 v170, v170                               // 000000005FE4: 7F540BAA
	v_cvt_f32_i32_e32 v171, v171                               // 000000005FE8: 7F560BAB
	v_mul_f32_e32 v168, v22, v168                              // 000000005FEC: 0B515116
	v_mul_f32_e32 v169, v22, v169                              // 000000005FF0: 0B535316
	v_mul_f32_e32 v170, v22, v170                              // 000000005FF4: 0B555516
	v_mul_f32_e32 v171, v22, v171                              // 000000005FF8: 0B575716
	v_mul_f32_dpp v168, v11, v168 row_newbcast:12 row_mask:0xf bank_mask:0xf// 000000005FFC: 0B5150FA FF015C0B
	v_mul_f32_dpp v169, v11, v169 row_newbcast:13 row_mask:0xf bank_mask:0xf// 000000006004: 0B5352FA FF015D0B
	v_mul_f32_dpp v170, v11, v170 row_newbcast:14 row_mask:0xf bank_mask:0xf// 00000000600C: 0B5554FA FF015E0B
	v_mul_f32_dpp v171, v11, v171 row_newbcast:15 row_mask:0xf bank_mask:0xf// 000000006014: 0B5756FA FF015F0B
	v_mul_f32_e32 v168, v17, v168                              // 00000000601C: 0B515111
	v_mul_f32_e32 v169, v17, v169                              // 000000006020: 0B535311
	v_mul_f32_e32 v170, v17, v170                              // 000000006024: 0B555511
	v_mul_f32_e32 v171, v17, v171                              // 000000006028: 0B575711
	v_cvt_f32_i32_e32 v172, v172                               // 00000000602C: 7F580BAC
	v_cvt_f32_i32_e32 v173, v173                               // 000000006030: 7F5A0BAD
	v_cvt_f32_i32_e32 v174, v174                               // 000000006034: 7F5C0BAE
	v_cvt_f32_i32_e32 v175, v175                               // 000000006038: 7F5E0BAF
	v_mul_f32_e32 v172, v23, v172                              // 00000000603C: 0B595917
	v_mul_f32_e32 v173, v23, v173                              // 000000006040: 0B5B5B17
	v_mul_f32_e32 v174, v23, v174                              // 000000006044: 0B5D5D17
	v_mul_f32_e32 v175, v23, v175                              // 000000006048: 0B5F5F17
	v_mul_f32_dpp v172, v11, v172 row_newbcast:12 row_mask:0xf bank_mask:0xf// 00000000604C: 0B5958FA FF015C0B
	v_mul_f32_dpp v173, v11, v173 row_newbcast:13 row_mask:0xf bank_mask:0xf// 000000006054: 0B5B5AFA FF015D0B
	v_mul_f32_dpp v174, v11, v174 row_newbcast:14 row_mask:0xf bank_mask:0xf// 00000000605C: 0B5D5CFA FF015E0B
	v_mul_f32_dpp v175, v11, v175 row_newbcast:15 row_mask:0xf bank_mask:0xf// 000000006064: 0B5F5EFA FF015F0B
	v_mul_f32_e32 v172, v18, v172                              // 00000000606C: 0B595912
	v_mul_f32_e32 v173, v18, v173                              // 000000006070: 0B5B5B12
	v_mul_f32_e32 v174, v18, v174                              // 000000006074: 0B5D5D12
	v_mul_f32_e32 v175, v18, v175                              // 000000006078: 0B5F5F12
	v_cvt_pkrtz_f16_f32 v144, v144, v145                       // 00000000607C: D2960090 00032390
	v_cvt_pkrtz_f16_f32 v145, v146, v147                       // 000000006084: D2960091 00032792
	v_cvt_pkrtz_f16_f32 v146, v148, v149                       // 00000000608C: D2960092 00032B94
	v_cvt_pkrtz_f16_f32 v147, v150, v151                       // 000000006094: D2960093 00032F96
	v_cvt_pkrtz_f16_f32 v148, v152, v153                       // 00000000609C: D2960094 00033398
	v_cvt_pkrtz_f16_f32 v149, v154, v155                       // 0000000060A4: D2960095 0003379A
	v_cvt_pkrtz_f16_f32 v150, v156, v157                       // 0000000060AC: D2960096 00033B9C
	v_cvt_pkrtz_f16_f32 v151, v158, v159                       // 0000000060B4: D2960097 00033F9E
	v_cvt_pkrtz_f16_f32 v152, v160, v161                       // 0000000060BC: D2960098 000343A0
	v_cvt_pkrtz_f16_f32 v153, v162, v163                       // 0000000060C4: D2960099 000347A2
	v_cvt_pkrtz_f16_f32 v154, v164, v165                       // 0000000060CC: D296009A 00034BA4
	v_cvt_pkrtz_f16_f32 v155, v166, v167                       // 0000000060D4: D296009B 00034FA6
	v_cvt_pkrtz_f16_f32 v156, v168, v169                       // 0000000060DC: D296009C 000353A8
	v_cvt_pkrtz_f16_f32 v157, v170, v171                       // 0000000060E4: D296009D 000357AA
	v_cvt_pkrtz_f16_f32 v158, v172, v173                       // 0000000060EC: D296009E 00035BAC
	v_cvt_pkrtz_f16_f32 v159, v174, v175                       // 0000000060F4: D296009F 00035FAE
	ds_write_b64 v3, v[144:145] offset:22784                   // 0000000060FC: D89A5900 00009003
	ds_write_b64 v3, v[146:147] offset:31488                   // 000000006104: D89A7B00 00009203
	ds_write_b64 v3, v[148:149] offset:24960                   // 00000000610C: D89A6180 00009403
	ds_write_b64 v3, v[150:151] offset:33664                   // 000000006114: D89A8380 00009603
	ds_write_b64 v3, v[152:153] offset:27136                   // 00000000611C: D89A6A00 00009803
	ds_write_b64 v3, v[154:155] offset:35840                   // 000000006124: D89A8C00 00009A03
	ds_write_b64 v3, v[156:157] offset:29312                   // 00000000612C: D89A7280 00009C03
	ds_write_b64 v3, v[158:159] offset:38016                   // 000000006134: D89A9480 00009E03
	s_waitcnt lgkmcnt(0)                                       // 00000000613C: BF8CC07F
	s_barrier                                                  // 000000006140: BF8A0000
	ds_read_b32 v64, v4 offset:22784                           // 000000006144: D86C5900 40000004
	ds_read_b32 v65, v4 offset:27136                           // 00000000614C: D86C6A00 41000004
	ds_read_b32 v66, v4 offset:22816                           // 000000006154: D86C5920 42000004
	ds_read_b32 v67, v4 offset:27168                           // 00000000615C: D86C6A20 43000004
	ds_read_b32 v68, v4 offset:22848                           // 000000006164: D86C5940 44000004
	ds_read_b32 v69, v4 offset:27200                           // 00000000616C: D86C6A40 45000004
	ds_read_b32 v70, v4 offset:22880                           // 000000006174: D86C5960 46000004
	ds_read_b32 v71, v4 offset:27232                           // 00000000617C: D86C6A60 47000004
	ds_read_b32 v72, v4 offset:31488                           // 000000006184: D86C7B00 48000004
	ds_read_b32 v73, v4 offset:35840                           // 00000000618C: D86C8C00 49000004
	ds_read_b32 v74, v4 offset:31520                           // 000000006194: D86C7B20 4A000004
	ds_read_b32 v75, v4 offset:35872                           // 00000000619C: D86C8C20 4B000004
	ds_read_b32 v76, v4 offset:31552                           // 0000000061A4: D86C7B40 4C000004
	ds_read_b32 v77, v4 offset:35904                           // 0000000061AC: D86C8C40 4D000004
	ds_read_b32 v78, v4 offset:31584                           // 0000000061B4: D86C7B60 4E000004
	ds_read_b32 v79, v4 offset:35936                           // 0000000061BC: D86C8C60 4F000004
	s_waitcnt lgkmcnt(0)                                       // 0000000061C4: BF8CC07F
	s_mov_b64 exec, s[20:21]                                   // 0000000061C8: BEFE0114
	global_atomic_pk_add_f16 v80, v64, s[8:9]                  // 0000000061CC: DD388000 00084050
	s_mov_b64 exec, s[36:37]                                   // 0000000061D4: BEFE0124
	s_mov_b64 exec, s[20:21]                                   // 0000000061D8: BEFE0114
	global_atomic_pk_add_f16 v80, v65, s[8:9] offset:256       // 0000000061DC: DD388100 00084150
	s_mov_b64 exec, s[36:37]                                   // 0000000061E4: BEFE0124
	s_mov_b64 exec, s[22:23]                                   // 0000000061E8: BEFE0116
	global_atomic_pk_add_f16 v82, v66, s[8:9]                  // 0000000061EC: DD388000 00084252
	s_mov_b64 exec, s[36:37]                                   // 0000000061F4: BEFE0124
	s_mov_b64 exec, s[22:23]                                   // 0000000061F8: BEFE0116
	global_atomic_pk_add_f16 v82, v67, s[8:9] offset:256       // 0000000061FC: DD388100 00084352
	s_mov_b64 exec, s[36:37]                                   // 000000006204: BEFE0124
	s_mov_b64 exec, s[24:25]                                   // 000000006208: BEFE0118
	global_atomic_pk_add_f16 v84, v68, s[8:9]                  // 00000000620C: DD388000 00084454
	s_mov_b64 exec, s[36:37]                                   // 000000006214: BEFE0124
	s_mov_b64 exec, s[24:25]                                   // 000000006218: BEFE0118
	global_atomic_pk_add_f16 v84, v69, s[8:9] offset:256       // 00000000621C: DD388100 00084554
	s_mov_b64 exec, s[36:37]                                   // 000000006224: BEFE0124
	s_mov_b64 exec, s[26:27]                                   // 000000006228: BEFE011A
	global_atomic_pk_add_f16 v86, v70, s[8:9]                  // 00000000622C: DD388000 00084656
	s_mov_b64 exec, s[36:37]                                   // 000000006234: BEFE0124
	s_mov_b64 exec, s[26:27]                                   // 000000006238: BEFE011A
	global_atomic_pk_add_f16 v86, v71, s[8:9] offset:256       // 00000000623C: DD388100 00084756
	s_mov_b64 exec, s[36:37]                                   // 000000006244: BEFE0124
	s_mov_b64 exec, s[28:29]                                   // 000000006248: BEFE011C
	global_atomic_pk_add_f16 v88, v72, s[8:9]                  // 00000000624C: DD388000 00084858
	s_mov_b64 exec, s[36:37]                                   // 000000006254: BEFE0124
	s_mov_b64 exec, s[28:29]                                   // 000000006258: BEFE011C
	global_atomic_pk_add_f16 v88, v73, s[8:9] offset:256       // 00000000625C: DD388100 00084958
	s_mov_b64 exec, s[36:37]                                   // 000000006264: BEFE0124
	s_mov_b64 exec, s[30:31]                                   // 000000006268: BEFE011E
	global_atomic_pk_add_f16 v90, v74, s[8:9]                  // 00000000626C: DD388000 00084A5A
	s_mov_b64 exec, s[36:37]                                   // 000000006274: BEFE0124
	s_mov_b64 exec, s[30:31]                                   // 000000006278: BEFE011E
	global_atomic_pk_add_f16 v90, v75, s[8:9] offset:256       // 00000000627C: DD388100 00084B5A
	s_mov_b64 exec, s[36:37]                                   // 000000006284: BEFE0124
	s_mov_b64 exec, s[32:33]                                   // 000000006288: BEFE0120
	global_atomic_pk_add_f16 v92, v76, s[8:9]                  // 00000000628C: DD388000 00084C5C
	s_mov_b64 exec, s[36:37]                                   // 000000006294: BEFE0124
	s_mov_b64 exec, s[32:33]                                   // 000000006298: BEFE0120
	global_atomic_pk_add_f16 v92, v77, s[8:9] offset:256       // 00000000629C: DD388100 00084D5C
	s_mov_b64 exec, s[36:37]                                   // 0000000062A4: BEFE0124
	s_mov_b64 exec, s[34:35]                                   // 0000000062A8: BEFE0122
	global_atomic_pk_add_f16 v94, v78, s[8:9]                  // 0000000062AC: DD388000 00084E5E
	s_mov_b64 exec, s[36:37]                                   // 0000000062B4: BEFE0124
	s_mov_b64 exec, s[34:35]                                   // 0000000062B8: BEFE0122
	global_atomic_pk_add_f16 v94, v79, s[8:9] offset:256       // 0000000062BC: DD388100 00084F5E
	s_mov_b64 exec, s[36:37]                                   // 0000000062C4: BEFE0124
	s_add_u32 s8, s59, s8                                      // 0000000062C8: 8008083B
	s_addc_u32 s9, 0, s9                                       // 0000000062CC: 82090980
	s_addk_i32 s80, 0x100                                      // 0000000062D0: B7500100
	s_cmp_lt_i32 s80, s81                                      // 0000000062D4: BF045150
	s_cbranch_scc0 label_08AF                                  // 0000000062D8: BF84FB78
	s_waitcnt vmcnt(21)                                        // 0000000062DC: BF8C4F75
	s_barrier                                                  // 0000000062E0: BF8A0000
	v_mfma_i32_16x16x32_i8 v[176:179], a[32:33], v[128:129], 0 // 0000000062E4: D3D700B0 0A030120
	buffer_load_dwordx4 a[0:3], v34, s[12:15], 0 offen         // 0000000062EC: E05C1000 80830022
	v_mfma_i32_16x16x32_i8 v[176:179], a[34:35], v[130:131], v[176:179]// 0000000062F4: D3D700B0 0EC30522
	v_mfma_i32_16x16x32_i8 v[180:183], a[32:33], v[136:137], 0 // 0000000062FC: D3D700B4 0A031120
	v_mfma_i32_16x16x32_i8 v[180:183], a[34:35], v[138:139], v[180:183]// 000000006304: D3D700B4 0ED31522
	v_mfma_i32_16x16x32_i8 v[184:187], a[36:37], v[128:129], 0 // 00000000630C: D3D700B8 0A030124
	buffer_load_dwordx4 a[4:7], v35, s[12:15], 0 offen         // 000000006314: E05C1000 80830423
	v_mfma_i32_16x16x32_i8 v[184:187], a[38:39], v[130:131], v[184:187]// 00000000631C: D3D700B8 0EE30526
	v_mfma_i32_16x16x32_i8 v[188:191], a[36:37], v[136:137], 0 // 000000006324: D3D700BC 0A031124
	v_mfma_i32_16x16x32_i8 v[188:191], a[38:39], v[138:139], v[188:191]// 00000000632C: D3D700BC 0EF31526
	v_mfma_i32_16x16x32_i8 v[192:195], a[40:41], v[128:129], 0 // 000000006334: D3D700C0 0A030128
	buffer_load_dwordx4 a[8:11], v36, s[12:15], 0 offen        // 00000000633C: E05C1000 80830824
	v_mfma_i32_16x16x32_i8 v[192:195], a[42:43], v[130:131], v[192:195]// 000000006344: D3D700C0 0F03052A
	v_mfma_i32_16x16x32_i8 v[196:199], a[40:41], v[136:137], 0 // 00000000634C: D3D700C4 0A031128
	v_mfma_i32_16x16x32_i8 v[196:199], a[42:43], v[138:139], v[196:199]// 000000006354: D3D700C4 0F13152A
	v_mfma_i32_16x16x32_i8 v[200:203], a[44:45], v[128:129], 0 // 00000000635C: D3D700C8 0A03012C
	buffer_load_dwordx4 a[12:15], v37, s[12:15], 0 offen       // 000000006364: E05C1000 80830C25
	s_add_u32 s12, s78, s12                                    // 00000000636C: 800C0C4E
	s_addc_u32 s13, 0, s13                                     // 000000006370: 820D0D80
	v_mfma_i32_16x16x32_i8 v[200:203], a[46:47], v[130:131], v[200:203]// 000000006374: D3D700C8 0F23052E
	v_mfma_i32_16x16x32_i8 v[204:207], a[44:45], v[136:137], 0 // 00000000637C: D3D700CC 0A03112C
	v_mfma_i32_16x16x32_i8 v[204:207], a[46:47], v[138:139], v[204:207]// 000000006384: D3D700CC 0F33152E
	s_waitcnt vmcnt(20)                                        // 00000000638C: BF8C4F74
	v_mfma_i32_16x16x32_i8 v[176:179], a[48:49], v[132:133], v[176:179]// 000000006390: D3D700B0 0EC30930
	buffer_load_dwordx4 a[16:19], v34, s[12:15], 0 offen       // 000000006398: E05C1000 80831022
	v_mfma_i32_16x16x32_i8 v[176:179], a[50:51], v[134:135], v[176:179]// 0000000063A0: D3D700B0 0EC30D32
	v_mfma_i32_16x16x32_i8 v[180:183], a[48:49], v[140:141], v[180:183]// 0000000063A8: D3D700B4 0ED31930
	buffer_load_dword v11, v5, s[16:19], 0 offen               // 0000000063B0: E0501000 80040B05
	v_mfma_i32_16x16x32_i8 v[180:183], a[50:51], v[142:143], v[180:183]// 0000000063B8: D3D700B4 0ED31D32
	v_mfma_i32_16x16x32_i8 v[184:187], a[52:53], v[132:133], v[184:187]// 0000000063C0: D3D700B8 0EE30934
	buffer_load_dwordx4 a[20:23], v35, s[12:15], 0 offen       // 0000000063C8: E05C1000 80831423
	v_mfma_i32_16x16x32_i8 v[184:187], a[54:55], v[134:135], v[184:187]// 0000000063D0: D3D700B8 0EE30D36
	v_mfma_i32_16x16x32_i8 v[188:191], a[52:53], v[140:141], v[188:191]// 0000000063D8: D3D700BC 0EF31934
	v_mfma_i32_16x16x32_i8 v[188:191], a[54:55], v[142:143], v[188:191]// 0000000063E0: D3D700BC 0EF31D36
	v_mfma_i32_16x16x32_i8 v[192:195], a[56:57], v[132:133], v[192:195]// 0000000063E8: D3D700C0 0F030938
	buffer_load_dwordx4 a[24:27], v36, s[12:15], 0 offen       // 0000000063F0: E05C1000 80831824
	v_mfma_i32_16x16x32_i8 v[192:195], a[58:59], v[134:135], v[192:195]// 0000000063F8: D3D700C0 0F030D3A
	v_mfma_i32_16x16x32_i8 v[196:199], a[56:57], v[140:141], v[196:199]// 000000006400: D3D700C4 0F131938
	v_mfma_i32_16x16x32_i8 v[196:199], a[58:59], v[142:143], v[196:199]// 000000006408: D3D700C4 0F131D3A
	v_mfma_i32_16x16x32_i8 v[200:203], a[60:61], v[132:133], v[200:203]// 000000006410: D3D700C8 0F23093C
	buffer_load_dwordx4 a[28:31], v37, s[12:15], 0 offen       // 000000006418: E05C1000 80831C25
	v_mfma_i32_16x16x32_i8 v[200:203], a[62:63], v[134:135], v[200:203]// 000000006420: D3D700C8 0F230D3E
	v_mfma_i32_16x16x32_i8 v[204:207], a[60:61], v[140:141], v[204:207]// 000000006428: D3D700CC 0F33193C
	v_mfma_i32_16x16x32_i8 v[204:207], a[62:63], v[142:143], v[204:207]// 000000006430: D3D700CC 0F331D3E
	s_add_u32 s60, 0x200, s80                                  // 000000006438: 803C50FF 00000200
	s_cmp_lt_u32 s60, s81                                      // 000000006440: BF0A513C
	s_cselect_b32 s56, s56, 0                                  // 000000006444: 85388038
	s_cselect_b32 s78, s78, 0                                  // 000000006448: 854E804E
	s_cselect_b32 s79, s79, 0                                  // 00000000644C: 854F804F
	s_add_u32 s12, s56, s12                                    // 000000006450: 800C0C38
	s_addc_u32 s13, 0, s13                                     // 000000006454: 820D0D80
	s_add_u32 s16, s79, s16                                    // 000000006458: 8010104F
	s_addc_u32 s17, 0, s17                                     // 00000000645C: 82111180
	v_cvt_f32_i32_e32 v176, v176                               // 000000006460: 7F600BB0
	v_cvt_f32_i32_e32 v177, v177                               // 000000006464: 7F620BB1
	v_cvt_f32_i32_e32 v178, v178                               // 000000006468: 7F640BB2
	v_cvt_f32_i32_e32 v179, v179                               // 00000000646C: 7F660BB3
	v_mul_f32_e32 v176, v22, v176                              // 000000006470: 0B616116
	v_mul_f32_e32 v177, v22, v177                              // 000000006474: 0B636316
	v_mul_f32_e32 v178, v22, v178                              // 000000006478: 0B656516
	v_mul_f32_e32 v179, v22, v179                              // 00000000647C: 0B676716
	v_mul_f32_dpp v176, v12, v176 row_newbcast:0 row_mask:0xf bank_mask:0xf// 000000006480: 0B6160FA FF01500C
	v_mul_f32_dpp v177, v12, v177 row_newbcast:1 row_mask:0xf bank_mask:0xf// 000000006488: 0B6362FA FF01510C
	v_mul_f32_dpp v178, v12, v178 row_newbcast:2 row_mask:0xf bank_mask:0xf// 000000006490: 0B6564FA FF01520C
	v_mul_f32_dpp v179, v12, v179 row_newbcast:3 row_mask:0xf bank_mask:0xf// 000000006498: 0B6766FA FF01530C
	v_mul_f32_e32 v176, v17, v176                              // 0000000064A0: 0B616111
	v_mul_f32_e32 v177, v17, v177                              // 0000000064A4: 0B636311
	v_mul_f32_e32 v178, v17, v178                              // 0000000064A8: 0B656511
	v_mul_f32_e32 v179, v17, v179                              // 0000000064AC: 0B676711
	v_cvt_f32_i32_e32 v180, v180                               // 0000000064B0: 7F680BB4
	v_cvt_f32_i32_e32 v181, v181                               // 0000000064B4: 7F6A0BB5
	v_cvt_f32_i32_e32 v182, v182                               // 0000000064B8: 7F6C0BB6
	v_cvt_f32_i32_e32 v183, v183                               // 0000000064BC: 7F6E0BB7
	v_mul_f32_e32 v180, v23, v180                              // 0000000064C0: 0B696917
	v_mul_f32_e32 v181, v23, v181                              // 0000000064C4: 0B6B6B17
	v_mul_f32_e32 v182, v23, v182                              // 0000000064C8: 0B6D6D17
	v_mul_f32_e32 v183, v23, v183                              // 0000000064CC: 0B6F6F17
	v_mul_f32_dpp v180, v12, v180 row_newbcast:0 row_mask:0xf bank_mask:0xf// 0000000064D0: 0B6968FA FF01500C
	v_mul_f32_dpp v181, v12, v181 row_newbcast:1 row_mask:0xf bank_mask:0xf// 0000000064D8: 0B6B6AFA FF01510C
	v_mul_f32_dpp v182, v12, v182 row_newbcast:2 row_mask:0xf bank_mask:0xf// 0000000064E0: 0B6D6CFA FF01520C
	v_mul_f32_dpp v183, v12, v183 row_newbcast:3 row_mask:0xf bank_mask:0xf// 0000000064E8: 0B6F6EFA FF01530C
	v_mul_f32_e32 v180, v18, v180                              // 0000000064F0: 0B696912
	v_mul_f32_e32 v181, v18, v181                              // 0000000064F4: 0B6B6B12
	v_mul_f32_e32 v182, v18, v182                              // 0000000064F8: 0B6D6D12
	v_mul_f32_e32 v183, v18, v183                              // 0000000064FC: 0B6F6F12
	v_cvt_f32_i32_e32 v184, v184                               // 000000006500: 7F700BB8
	v_cvt_f32_i32_e32 v185, v185                               // 000000006504: 7F720BB9
	v_cvt_f32_i32_e32 v186, v186                               // 000000006508: 7F740BBA
	v_cvt_f32_i32_e32 v187, v187                               // 00000000650C: 7F760BBB
	v_mul_f32_e32 v184, v22, v184                              // 000000006510: 0B717116
	v_mul_f32_e32 v185, v22, v185                              // 000000006514: 0B737316
	v_mul_f32_e32 v186, v22, v186                              // 000000006518: 0B757516
	v_mul_f32_e32 v187, v22, v187                              // 00000000651C: 0B777716
	v_mul_f32_dpp v184, v12, v184 row_newbcast:4 row_mask:0xf bank_mask:0xf// 000000006520: 0B7170FA FF01540C
	v_mul_f32_dpp v185, v12, v185 row_newbcast:5 row_mask:0xf bank_mask:0xf// 000000006528: 0B7372FA FF01550C
	v_mul_f32_dpp v186, v12, v186 row_newbcast:6 row_mask:0xf bank_mask:0xf// 000000006530: 0B7574FA FF01560C
	v_mul_f32_dpp v187, v12, v187 row_newbcast:7 row_mask:0xf bank_mask:0xf// 000000006538: 0B7776FA FF01570C
	v_mul_f32_e32 v184, v17, v184                              // 000000006540: 0B717111
	v_mul_f32_e32 v185, v17, v185                              // 000000006544: 0B737311
	v_mul_f32_e32 v186, v17, v186                              // 000000006548: 0B757511
	v_mul_f32_e32 v187, v17, v187                              // 00000000654C: 0B777711
	v_cvt_f32_i32_e32 v188, v188                               // 000000006550: 7F780BBC
	v_cvt_f32_i32_e32 v189, v189                               // 000000006554: 7F7A0BBD
	v_cvt_f32_i32_e32 v190, v190                               // 000000006558: 7F7C0BBE
	v_cvt_f32_i32_e32 v191, v191                               // 00000000655C: 7F7E0BBF
	v_mul_f32_e32 v188, v23, v188                              // 000000006560: 0B797917
	v_mul_f32_e32 v189, v23, v189                              // 000000006564: 0B7B7B17
	v_mul_f32_e32 v190, v23, v190                              // 000000006568: 0B7D7D17
	v_mul_f32_e32 v191, v23, v191                              // 00000000656C: 0B7F7F17
	v_mul_f32_dpp v188, v12, v188 row_newbcast:4 row_mask:0xf bank_mask:0xf// 000000006570: 0B7978FA FF01540C
	v_mul_f32_dpp v189, v12, v189 row_newbcast:5 row_mask:0xf bank_mask:0xf// 000000006578: 0B7B7AFA FF01550C
	v_mul_f32_dpp v190, v12, v190 row_newbcast:6 row_mask:0xf bank_mask:0xf// 000000006580: 0B7D7CFA FF01560C
	v_mul_f32_dpp v191, v12, v191 row_newbcast:7 row_mask:0xf bank_mask:0xf// 000000006588: 0B7F7EFA FF01570C
	v_mul_f32_e32 v188, v18, v188                              // 000000006590: 0B797912
	v_mul_f32_e32 v189, v18, v189                              // 000000006594: 0B7B7B12
	v_mul_f32_e32 v190, v18, v190                              // 000000006598: 0B7D7D12
	v_mul_f32_e32 v191, v18, v191                              // 00000000659C: 0B7F7F12
	v_cvt_f32_i32_e32 v192, v192                               // 0000000065A0: 7F800BC0
	v_cvt_f32_i32_e32 v193, v193                               // 0000000065A4: 7F820BC1
	v_cvt_f32_i32_e32 v194, v194                               // 0000000065A8: 7F840BC2
	v_cvt_f32_i32_e32 v195, v195                               // 0000000065AC: 7F860BC3
	v_mul_f32_e32 v192, v22, v192                              // 0000000065B0: 0B818116
	v_mul_f32_e32 v193, v22, v193                              // 0000000065B4: 0B838316
	v_mul_f32_e32 v194, v22, v194                              // 0000000065B8: 0B858516
	v_mul_f32_e32 v195, v22, v195                              // 0000000065BC: 0B878716
	v_mul_f32_dpp v192, v12, v192 row_newbcast:8 row_mask:0xf bank_mask:0xf// 0000000065C0: 0B8180FA FF01580C
	v_mul_f32_dpp v193, v12, v193 row_newbcast:9 row_mask:0xf bank_mask:0xf// 0000000065C8: 0B8382FA FF01590C
	v_mul_f32_dpp v194, v12, v194 row_newbcast:10 row_mask:0xf bank_mask:0xf// 0000000065D0: 0B8584FA FF015A0C
	v_mul_f32_dpp v195, v12, v195 row_newbcast:11 row_mask:0xf bank_mask:0xf// 0000000065D8: 0B8786FA FF015B0C
	v_mul_f32_e32 v192, v17, v192                              // 0000000065E0: 0B818111
	v_mul_f32_e32 v193, v17, v193                              // 0000000065E4: 0B838311
	v_mul_f32_e32 v194, v17, v194                              // 0000000065E8: 0B858511
	v_mul_f32_e32 v195, v17, v195                              // 0000000065EC: 0B878711
	v_cvt_f32_i32_e32 v196, v196                               // 0000000065F0: 7F880BC4
	v_cvt_f32_i32_e32 v197, v197                               // 0000000065F4: 7F8A0BC5
	v_cvt_f32_i32_e32 v198, v198                               // 0000000065F8: 7F8C0BC6
	v_cvt_f32_i32_e32 v199, v199                               // 0000000065FC: 7F8E0BC7
	v_mul_f32_e32 v196, v23, v196                              // 000000006600: 0B898917
	v_mul_f32_e32 v197, v23, v197                              // 000000006604: 0B8B8B17
	v_mul_f32_e32 v198, v23, v198                              // 000000006608: 0B8D8D17
	v_mul_f32_e32 v199, v23, v199                              // 00000000660C: 0B8F8F17
	v_mul_f32_dpp v196, v12, v196 row_newbcast:8 row_mask:0xf bank_mask:0xf// 000000006610: 0B8988FA FF01580C
	v_mul_f32_dpp v197, v12, v197 row_newbcast:9 row_mask:0xf bank_mask:0xf// 000000006618: 0B8B8AFA FF01590C
	v_mul_f32_dpp v198, v12, v198 row_newbcast:10 row_mask:0xf bank_mask:0xf// 000000006620: 0B8D8CFA FF015A0C
	v_mul_f32_dpp v199, v12, v199 row_newbcast:11 row_mask:0xf bank_mask:0xf// 000000006628: 0B8F8EFA FF015B0C
	v_mul_f32_e32 v196, v18, v196                              // 000000006630: 0B898912
	v_mul_f32_e32 v197, v18, v197                              // 000000006634: 0B8B8B12
	v_mul_f32_e32 v198, v18, v198                              // 000000006638: 0B8D8D12
	v_mul_f32_e32 v199, v18, v199                              // 00000000663C: 0B8F8F12
	v_cvt_f32_i32_e32 v200, v200                               // 000000006640: 7F900BC8
	v_cvt_f32_i32_e32 v201, v201                               // 000000006644: 7F920BC9
	v_cvt_f32_i32_e32 v202, v202                               // 000000006648: 7F940BCA
	v_cvt_f32_i32_e32 v203, v203                               // 00000000664C: 7F960BCB
	v_mul_f32_e32 v200, v22, v200                              // 000000006650: 0B919116
	v_mul_f32_e32 v201, v22, v201                              // 000000006654: 0B939316
	v_mul_f32_e32 v202, v22, v202                              // 000000006658: 0B959516
	v_mul_f32_e32 v203, v22, v203                              // 00000000665C: 0B979716
	v_mul_f32_dpp v200, v12, v200 row_newbcast:12 row_mask:0xf bank_mask:0xf// 000000006660: 0B9190FA FF015C0C
	v_mul_f32_dpp v201, v12, v201 row_newbcast:13 row_mask:0xf bank_mask:0xf// 000000006668: 0B9392FA FF015D0C
	v_mul_f32_dpp v202, v12, v202 row_newbcast:14 row_mask:0xf bank_mask:0xf// 000000006670: 0B9594FA FF015E0C
	v_mul_f32_dpp v203, v12, v203 row_newbcast:15 row_mask:0xf bank_mask:0xf// 000000006678: 0B9796FA FF015F0C
	v_mul_f32_e32 v200, v17, v200                              // 000000006680: 0B919111
	v_mul_f32_e32 v201, v17, v201                              // 000000006684: 0B939311
	v_mul_f32_e32 v202, v17, v202                              // 000000006688: 0B959511
	v_mul_f32_e32 v203, v17, v203                              // 00000000668C: 0B979711
	v_cvt_f32_i32_e32 v204, v204                               // 000000006690: 7F980BCC
	v_cvt_f32_i32_e32 v205, v205                               // 000000006694: 7F9A0BCD
	v_cvt_f32_i32_e32 v206, v206                               // 000000006698: 7F9C0BCE
	v_cvt_f32_i32_e32 v207, v207                               // 00000000669C: 7F9E0BCF
	v_mul_f32_e32 v204, v23, v204                              // 0000000066A0: 0B999917
	v_mul_f32_e32 v205, v23, v205                              // 0000000066A4: 0B9B9B17
	v_mul_f32_e32 v206, v23, v206                              // 0000000066A8: 0B9D9D17
	v_mul_f32_e32 v207, v23, v207                              // 0000000066AC: 0B9F9F17
	v_mul_f32_dpp v204, v12, v204 row_newbcast:12 row_mask:0xf bank_mask:0xf// 0000000066B0: 0B9998FA FF015C0C
	v_mul_f32_dpp v205, v12, v205 row_newbcast:13 row_mask:0xf bank_mask:0xf// 0000000066B8: 0B9B9AFA FF015D0C
	v_mul_f32_dpp v206, v12, v206 row_newbcast:14 row_mask:0xf bank_mask:0xf// 0000000066C0: 0B9D9CFA FF015E0C
	v_mul_f32_dpp v207, v12, v207 row_newbcast:15 row_mask:0xf bank_mask:0xf// 0000000066C8: 0B9F9EFA FF015F0C
	v_mul_f32_e32 v204, v18, v204                              // 0000000066D0: 0B999912
	v_mul_f32_e32 v205, v18, v205                              // 0000000066D4: 0B9B9B12
	v_mul_f32_e32 v206, v18, v206                              // 0000000066D8: 0B9D9D12
	v_mul_f32_e32 v207, v18, v207                              // 0000000066DC: 0B9F9F12
	v_cvt_pkrtz_f16_f32 v176, v176, v177                       // 0000000066E0: D29600B0 000363B0
	v_cvt_pkrtz_f16_f32 v177, v178, v179                       // 0000000066E8: D29600B1 000367B2
	v_cvt_pkrtz_f16_f32 v178, v180, v181                       // 0000000066F0: D29600B2 00036BB4
	v_cvt_pkrtz_f16_f32 v179, v182, v183                       // 0000000066F8: D29600B3 00036FB6
	v_cvt_pkrtz_f16_f32 v180, v184, v185                       // 000000006700: D29600B4 000373B8
	v_cvt_pkrtz_f16_f32 v181, v186, v187                       // 000000006708: D29600B5 000377BA
	v_cvt_pkrtz_f16_f32 v182, v188, v189                       // 000000006710: D29600B6 00037BBC
	v_cvt_pkrtz_f16_f32 v183, v190, v191                       // 000000006718: D29600B7 00037FBE
	v_cvt_pkrtz_f16_f32 v184, v192, v193                       // 000000006720: D29600B8 000383C0
	v_cvt_pkrtz_f16_f32 v185, v194, v195                       // 000000006728: D29600B9 000387C2
	v_cvt_pkrtz_f16_f32 v186, v196, v197                       // 000000006730: D29600BA 00038BC4
	v_cvt_pkrtz_f16_f32 v187, v198, v199                       // 000000006738: D29600BB 00038FC6
	v_cvt_pkrtz_f16_f32 v188, v200, v201                       // 000000006740: D29600BC 000393C8
	v_cvt_pkrtz_f16_f32 v189, v202, v203                       // 000000006748: D29600BD 000397CA
	v_cvt_pkrtz_f16_f32 v190, v204, v205                       // 000000006750: D29600BE 00039BCC
	v_cvt_pkrtz_f16_f32 v191, v206, v207                       // 000000006758: D29600BF 00039FCE
	ds_write_b64 v3, v[176:177] offset:22784                   // 000000006760: D89A5900 0000B003
	ds_write_b64 v3, v[178:179] offset:31488                   // 000000006768: D89A7B00 0000B203
	ds_write_b64 v3, v[180:181] offset:24960                   // 000000006770: D89A6180 0000B403
	ds_write_b64 v3, v[182:183] offset:33664                   // 000000006778: D89A8380 0000B603
	ds_write_b64 v3, v[184:185] offset:27136                   // 000000006780: D89A6A00 0000B803
	ds_write_b64 v3, v[186:187] offset:35840                   // 000000006788: D89A8C00 0000BA03
	ds_write_b64 v3, v[188:189] offset:29312                   // 000000006790: D89A7280 0000BC03
	ds_write_b64 v3, v[190:191] offset:38016                   // 000000006798: D89A9480 0000BE03
	s_waitcnt lgkmcnt(0)                                       // 0000000067A0: BF8CC07F
	s_barrier                                                  // 0000000067A4: BF8A0000
	ds_read_b32 v64, v4 offset:22784                           // 0000000067A8: D86C5900 40000004
	ds_read_b32 v65, v4 offset:27136                           // 0000000067B0: D86C6A00 41000004
	ds_read_b32 v66, v4 offset:22816                           // 0000000067B8: D86C5920 42000004
	ds_read_b32 v67, v4 offset:27168                           // 0000000067C0: D86C6A20 43000004
	ds_read_b32 v68, v4 offset:22848                           // 0000000067C8: D86C5940 44000004
	ds_read_b32 v69, v4 offset:27200                           // 0000000067D0: D86C6A40 45000004
	ds_read_b32 v70, v4 offset:22880                           // 0000000067D8: D86C5960 46000004
	ds_read_b32 v71, v4 offset:27232                           // 0000000067E0: D86C6A60 47000004
	ds_read_b32 v72, v4 offset:31488                           // 0000000067E8: D86C7B00 48000004
	ds_read_b32 v73, v4 offset:35840                           // 0000000067F0: D86C8C00 49000004
	ds_read_b32 v74, v4 offset:31520                           // 0000000067F8: D86C7B20 4A000004
	ds_read_b32 v75, v4 offset:35872                           // 000000006800: D86C8C20 4B000004
	ds_read_b32 v76, v4 offset:31552                           // 000000006808: D86C7B40 4C000004
	ds_read_b32 v77, v4 offset:35904                           // 000000006810: D86C8C40 4D000004
	ds_read_b32 v78, v4 offset:31584                           // 000000006818: D86C7B60 4E000004
	ds_read_b32 v79, v4 offset:35936                           // 000000006820: D86C8C60 4F000004
	s_waitcnt lgkmcnt(0)                                       // 000000006828: BF8CC07F
	s_mov_b64 exec, s[20:21]                                   // 00000000682C: BEFE0114
	global_atomic_pk_add_f16 v80, v64, s[8:9]                  // 000000006830: DD388000 00084050
	s_mov_b64 exec, s[36:37]                                   // 000000006838: BEFE0124
	s_mov_b64 exec, s[20:21]                                   // 00000000683C: BEFE0114
	global_atomic_pk_add_f16 v80, v65, s[8:9] offset:256       // 000000006840: DD388100 00084150
	s_mov_b64 exec, s[36:37]                                   // 000000006848: BEFE0124
	s_mov_b64 exec, s[22:23]                                   // 00000000684C: BEFE0116
	global_atomic_pk_add_f16 v82, v66, s[8:9]                  // 000000006850: DD388000 00084252
	s_mov_b64 exec, s[36:37]                                   // 000000006858: BEFE0124
	s_mov_b64 exec, s[22:23]                                   // 00000000685C: BEFE0116
	global_atomic_pk_add_f16 v82, v67, s[8:9] offset:256       // 000000006860: DD388100 00084352
	s_mov_b64 exec, s[36:37]                                   // 000000006868: BEFE0124
	s_mov_b64 exec, s[24:25]                                   // 00000000686C: BEFE0118
	global_atomic_pk_add_f16 v84, v68, s[8:9]                  // 000000006870: DD388000 00084454
	s_mov_b64 exec, s[36:37]                                   // 000000006878: BEFE0124
	s_mov_b64 exec, s[24:25]                                   // 00000000687C: BEFE0118
	global_atomic_pk_add_f16 v84, v69, s[8:9] offset:256       // 000000006880: DD388100 00084554
	s_mov_b64 exec, s[36:37]                                   // 000000006888: BEFE0124
	s_mov_b64 exec, s[26:27]                                   // 00000000688C: BEFE011A
	global_atomic_pk_add_f16 v86, v70, s[8:9]                  // 000000006890: DD388000 00084656
	s_mov_b64 exec, s[36:37]                                   // 000000006898: BEFE0124
	s_mov_b64 exec, s[26:27]                                   // 00000000689C: BEFE011A
	global_atomic_pk_add_f16 v86, v71, s[8:9] offset:256       // 0000000068A0: DD388100 00084756
	s_mov_b64 exec, s[36:37]                                   // 0000000068A8: BEFE0124
	s_mov_b64 exec, s[28:29]                                   // 0000000068AC: BEFE011C
	global_atomic_pk_add_f16 v88, v72, s[8:9]                  // 0000000068B0: DD388000 00084858
	s_mov_b64 exec, s[36:37]                                   // 0000000068B8: BEFE0124
	s_mov_b64 exec, s[28:29]                                   // 0000000068BC: BEFE011C
	global_atomic_pk_add_f16 v88, v73, s[8:9] offset:256       // 0000000068C0: DD388100 00084958
	s_mov_b64 exec, s[36:37]                                   // 0000000068C8: BEFE0124
	s_mov_b64 exec, s[30:31]                                   // 0000000068CC: BEFE011E
	global_atomic_pk_add_f16 v90, v74, s[8:9]                  // 0000000068D0: DD388000 00084A5A
	s_mov_b64 exec, s[36:37]                                   // 0000000068D8: BEFE0124
	s_mov_b64 exec, s[30:31]                                   // 0000000068DC: BEFE011E
	global_atomic_pk_add_f16 v90, v75, s[8:9] offset:256       // 0000000068E0: DD388100 00084B5A
	s_mov_b64 exec, s[36:37]                                   // 0000000068E8: BEFE0124
	s_mov_b64 exec, s[32:33]                                   // 0000000068EC: BEFE0120
	global_atomic_pk_add_f16 v92, v76, s[8:9]                  // 0000000068F0: DD388000 00084C5C
	s_mov_b64 exec, s[36:37]                                   // 0000000068F8: BEFE0124
	s_mov_b64 exec, s[32:33]                                   // 0000000068FC: BEFE0120
	global_atomic_pk_add_f16 v92, v77, s[8:9] offset:256       // 000000006900: DD388100 00084D5C
	s_mov_b64 exec, s[36:37]                                   // 000000006908: BEFE0124
	s_mov_b64 exec, s[34:35]                                   // 00000000690C: BEFE0122
	global_atomic_pk_add_f16 v94, v78, s[8:9]                  // 000000006910: DD388000 00084E5E
	s_mov_b64 exec, s[36:37]                                   // 000000006918: BEFE0124
	s_mov_b64 exec, s[34:35]                                   // 00000000691C: BEFE0122
	global_atomic_pk_add_f16 v94, v79, s[8:9] offset:256       // 000000006920: DD388100 00084F5E
	s_mov_b64 exec, s[36:37]                                   // 000000006928: BEFE0124
	s_add_u32 s8, s59, s8                                      // 00000000692C: 8008083B
	s_addc_u32 s9, 0, s9                                       // 000000006930: 82090980
	s_addk_i32 s80, 0x100                                      // 000000006934: B7500100
	s_cmp_lt_i32 s80, s81                                      // 000000006938: BF045150
	s_cbranch_scc0 label_08AF                                  // 00000000693C: BF84F9DF
	s_branch label_0B9E                                        // 000000006940: BF82FCCD

0000000000006944 <label_0ED1>:
	s_waitcnt vmcnt(0) expcnt(0) lgkmcnt(0)                    // 000000006944: BF8C0000
	s_add_u32 s100, s100, 1                                    // 000000006948: 80648164
	s_cmp_eq_u32 s96, 0                                        // 00000000694C: BF068060
	s_cbranch_scc0 label_0039                                  // 000000006950: BF84F164

0000000000006954 <label_0ED5>:
	s_waitcnt vmcnt(0) expcnt(0) lgkmcnt(0)                    // 000000006954: BF8C0000
	s_endpgm                                                   // 000000006958: BF810000
